;; amdgpu-corpus repo=ggml-org/llama.cpp kind=compiled arch=gfx1250 opt=O3
	.amdgcn_target "amdgcn-amd-amdhsa--gfx1250"
	.amdhsa_code_object_version 6
	.section	.text._ZL21gated_linear_attn_f32ILi64EEviiiifPKfS1_S1_S1_S1_Pf,"axG",@progbits,_ZL21gated_linear_attn_f32ILi64EEviiiifPKfS1_S1_S1_S1_Pf,comdat
	.globl	_ZL21gated_linear_attn_f32ILi64EEviiiifPKfS1_S1_S1_S1_Pf ; -- Begin function _ZL21gated_linear_attn_f32ILi64EEviiiifPKfS1_S1_S1_S1_Pf
	.p2align	8
	.type	_ZL21gated_linear_attn_f32ILi64EEviiiifPKfS1_S1_S1_S1_Pf,@function
_ZL21gated_linear_attn_f32ILi64EEviiiifPKfS1_S1_S1_S1_Pf: ; @_ZL21gated_linear_attn_f32ILi64EEviiiifPKfS1_S1_S1_S1_Pf
; %bb.0:
	s_clause 0x1
	s_load_b128 s[16:19], s[0:1], 0x0
	s_load_b128 s[12:15], s[0:1], 0x38
	s_bfe_u32 s2, ttmp6, 0x4000c
	s_and_b32 s3, ttmp6, 15
	s_add_co_i32 s2, s2, 1
	s_getreg_b32 s4, hwreg(HW_REG_IB_STS2, 6, 4)
	s_mul_i32 s2, ttmp9, s2
	s_delay_alu instid0(SALU_CYCLE_1) | instskip(SKIP_2) | instid1(SALU_CYCLE_1)
	s_add_co_i32 s3, s3, s2
	s_cmp_eq_u32 s4, 0
	s_cselect_b32 s2, ttmp9, s3
	s_abs_i32 s6, s2
	s_wait_kmcnt 0x0
	s_abs_i32 s3, s19
	s_delay_alu instid0(SALU_CYCLE_1) | instskip(SKIP_1) | instid1(SALU_CYCLE_2)
	s_cvt_f32_u32 s4, s3
	s_sub_co_i32 s5, 0, s3
	v_rcp_iflag_f32_e32 v1, s4
	v_nop
	s_delay_alu instid0(TRANS32_DEP_1) | instskip(SKIP_1) | instid1(SALU_CYCLE_3)
	v_readfirstlane_b32 s4, v1
	s_mul_f32 s4, s4, 0x4f7ffffe
	s_cvt_u32_f32 s4, s4
	s_delay_alu instid0(SALU_CYCLE_3) | instskip(NEXT) | instid1(SALU_CYCLE_1)
	s_mul_i32 s5, s5, s4
	s_mul_hi_u32 s5, s4, s5
	s_delay_alu instid0(SALU_CYCLE_1) | instskip(SKIP_4) | instid1(SALU_CYCLE_1)
	s_add_co_i32 s4, s4, s5
	s_xor_b32 s5, s2, s19
	s_mul_hi_u32 s4, s6, s4
	s_ashr_i32 s5, s5, 31
	s_mul_i32 s7, s4, s3
	s_sub_co_i32 s6, s6, s7
	s_add_co_i32 s7, s4, 1
	s_sub_co_i32 s8, s6, s3
	s_cmp_ge_u32 s6, s3
	s_cselect_b32 s4, s7, s4
	s_cselect_b32 s6, s8, s6
	s_add_co_i32 s7, s4, 1
	s_cmp_ge_u32 s6, s3
	s_cselect_b32 s3, s7, s4
	s_abs_i32 s7, s17
	s_xor_b32 s3, s3, s5
	s_delay_alu instid0(SALU_CYCLE_1) | instskip(NEXT) | instid1(SALU_CYCLE_1)
	s_sub_co_i32 s3, s3, s5
	s_mul_i32 s4, s3, s19
	s_mul_i32 s5, s18, s3
	s_sub_co_i32 s2, s2, s4
	s_lshl_b32 s4, s5, 6
	s_lshl_b32 s5, s2, 12
	s_delay_alu instid0(SALU_CYCLE_1)
	v_add3_u32 v77, s5, s4, v0
	s_abs_i32 s4, s16
	s_clause 0x3e
	global_load_b32 v14, v77, s[12:13] scale_offset
	global_load_b32 v15, v77, s[12:13] offset:256 scale_offset
	global_load_b32 v12, v77, s[12:13] offset:512 scale_offset
	;; [unrolled: 1-line block ×63, first 2 shown]
	s_cvt_f32_u32 s5, s4
	s_sub_co_i32 s6, 0, s4
	s_delay_alu instid0(SALU_CYCLE_2) | instskip(SKIP_1) | instid1(TRANS32_DEP_1)
	v_rcp_iflag_f32_e32 v1, s5
	v_nop
	v_readfirstlane_b32 s5, v1
	v_lshl_add_u32 v1, s2, 6, v0
	s_mul_f32 s5, s5, 0x4f7ffffe
	s_delay_alu instid0(SALU_CYCLE_3) | instskip(NEXT) | instid1(SALU_CYCLE_3)
	s_cvt_u32_f32 s5, s5
	s_mul_i32 s6, s6, s5
	s_delay_alu instid0(SALU_CYCLE_1) | instskip(NEXT) | instid1(SALU_CYCLE_1)
	s_mul_hi_u32 s6, s5, s6
	s_add_co_i32 s5, s5, s6
	s_xor_b32 s6, s17, s16
	s_mul_hi_u32 s5, s7, s5
	s_ashr_i32 s6, s6, 31
	s_mul_i32 s8, s5, s4
	s_delay_alu instid0(SALU_CYCLE_1)
	s_sub_co_i32 s7, s7, s8
	s_add_co_i32 s8, s5, 1
	s_sub_co_i32 s9, s7, s4
	s_cmp_ge_u32 s7, s4
	s_cselect_b32 s5, s8, s5
	s_cselect_b32 s7, s9, s7
	s_add_co_i32 s8, s5, 1
	s_cmp_ge_u32 s7, s4
	s_cselect_b32 s4, s8, s5
	s_add_co_i32 s2, s3, 1
	s_xor_b32 s4, s4, s6
	s_delay_alu instid0(SALU_CYCLE_1) | instskip(NEXT) | instid1(SALU_CYCLE_1)
	s_sub_co_i32 s4, s4, s6
	s_mul_i32 s4, s4, s18
	s_delay_alu instid0(SALU_CYCLE_1) | instskip(SKIP_4) | instid1(VALU_DEP_1)
	v_mad_u32 v78, s4, s2, v1
	v_mad_u32 v72, s4, s3, v1
	s_mov_b32 s3, 0
	s_mov_b32 s2, exec_lo
	s_wait_xcnt 0x0
	v_cmpx_lt_i32_e64 v72, v78
	s_cbranch_execz .LBB0_4
; %bb.1:
	s_clause 0x1
	s_load_b32 s12, s[0:1], 0x10
	s_load_b256 s[4:11], s[0:1], 0x18
	v_ashrrev_i32_e32 v73, 31, v72
	v_dual_lshlrev_b32 v79, 2, v0 :: v_dual_mov_b32 v81, 0
	s_ashr_i32 s19, s18, 31
	s_delay_alu instid0(VALU_DEP_2) | instskip(NEXT) | instid1(VALU_DEP_2)
	v_lshlrev_b64_e32 v[74:75], 2, v[72:73]
	v_add_nc_u32_e32 v80, 0x100, v79
	v_add_nc_u32_e32 v73, 0x200, v79
	s_wait_xcnt 0x0
	s_lshl_b64 s[0:1], s[18:19], 2
.LBB0_2:                                ; =>This Inner Loop Header: Depth=1
	s_wait_kmcnt 0x0
	s_delay_alu instid0(VALU_DEP_3)
	v_add_nc_u64_e32 v[0:1], s[4:5], v[74:75]
	v_add_nc_u64_e32 v[2:3], s[8:9], v[74:75]
	;; [unrolled: 1-line block ×3, first 2 shown]
	s_wait_loadcnt 0x0
	s_barrier_signal -1
	s_barrier_wait -1
	global_load_b32 v0, v[0:1], off
	global_load_b32 v1, v[2:3], off
	;; [unrolled: 1-line block ×3, first 2 shown]
	s_wait_xcnt 0x0
	v_add_nc_u64_e32 v[4:5], s[6:7], v[74:75]
	s_wait_loadcnt 0x2
	ds_store_b32 v79, v0
	s_wait_loadcnt 0x1
	ds_store_b32 v80, v1
	;; [unrolled: 2-line block ×3, first 2 shown]
	s_wait_dscnt 0x0
	s_barrier_signal -1
	s_barrier_wait -1
	global_load_b32 v76, v[4:5], off
	ds_load_b128 v[0:3], v81 offset:512
	s_wait_xcnt 0x0
	ds_load_b128 v[4:7], v81 offset:528
	ds_load_b128 v[82:85], v81 offset:544
	;; [unrolled: 1-line block ×3, first 2 shown]
	v_add_nc_u32_e32 v72, s18, v72
	s_delay_alu instid0(VALU_DEP_1)
	v_cmp_ge_i32_e32 vcc_lo, v72, v78
	s_or_b32 s3, vcc_lo, s3
	s_wait_dscnt 0x3
	v_pk_mul_f32 v[90:91], v[14:15], v[0:1]
	v_pk_mul_f32 v[92:93], v[12:13], v[2:3]
	ds_load_b128 v[0:3], v81 offset:576
	s_wait_dscnt 0x3
	v_pk_mul_f32 v[94:95], v[18:19], v[4:5]
	v_pk_mul_f32 v[96:97], v[16:17], v[6:7]
	ds_load_b128 v[4:7], v81 offset:592
	s_wait_dscnt 0x3
	v_pk_mul_f32 v[20:21], v[20:21], v[84:85]
	ds_load_b128 v[12:15], v81 offset:608
	ds_load_b128 v[16:19], v81 offset:624
	s_wait_dscnt 0x4
	v_pk_mul_f32 v[84:85], v[26:27], v[86:87]
	v_pk_mul_f32 v[86:87], v[24:25], v[88:89]
	;; [unrolled: 1-line block ×3, first 2 shown]
	ds_load_b128 v[22:25], v81 offset:32
	s_wait_dscnt 0x4
	v_pk_mul_f32 v[30:31], v[30:31], v[0:1]
	v_pk_mul_f32 v[88:89], v[28:29], v[2:3]
	ds_load_b128 v[0:3], v81 offset:640
	s_wait_dscnt 0x4
	v_pk_mul_f32 v[98:99], v[34:35], v[4:5]
	v_pk_mul_f32 v[32:33], v[32:33], v[6:7]
	;; [unrolled: 4-line block ×4, first 2 shown]
	ds_load_b128 v[16:19], v81 offset:688
	ds_load_b128 v[26:29], v81 offset:48
	;; [unrolled: 1-line block ×4, first 2 shown]
	s_wait_dscnt 0x6
	v_pk_mul_f32 v[106:107], v[46:47], v[0:1]
	v_pk_mul_f32 v[44:45], v[44:45], v[2:3]
	ds_load_b128 v[0:3], v81 offset:704
	s_wait_dscnt 0x6
	v_pk_mul_f32 v[108:109], v[50:51], v[4:5]
	v_pk_mul_f32 v[110:111], v[48:49], v[6:7]
	ds_load_b128 v[4:7], v81 offset:720
	;; [unrolled: 4-line block ×3, first 2 shown]
	s_wait_dscnt 0x6
	v_pk_mul_f32 v[114:115], v[58:59], v[16:17]
	v_pk_mul_f32 v[56:57], v[56:57], v[18:19]
	ds_load_b128 v[16:19], v81
	ds_load_b128 v[46:49], v81 offset:128
	ds_load_b128 v[50:53], v81 offset:144
	s_wait_dscnt 0x5
	v_pk_mul_f32 v[116:117], v[62:63], v[0:1]
	v_pk_mul_f32 v[118:119], v[60:61], v[2:3]
	ds_load_b128 v[0:3], v81 offset:752
	s_wait_dscnt 0x5
	v_pk_mul_f32 v[70:71], v[70:71], v[4:5]
	v_pk_mul_f32 v[68:69], v[68:69], v[6:7]
	;; [unrolled: 4-line block ×3, first 2 shown]
	ds_load_b128 v[58:61], v81 offset:176
	ds_load_b128 v[62:65], v81 offset:192
	s_wait_dscnt 0x3
	v_pk_mul_f32 v[0:1], v[8:9], v[0:1]
	s_wait_loadcnt 0x0
	v_pk_fma_f32 v[14:15], v[76:77], v[16:17], v[90:91] op_sel_hi:[0,1,1]
	v_pk_fma_f32 v[12:13], v[76:77], v[18:19], v[92:93] op_sel_hi:[0,1,1]
	s_wait_dscnt 0x2
	v_pk_fma_f32 v[18:19], v[76:77], v[4:5], v[94:95] op_sel_hi:[0,1,1]
	v_pk_fma_f32 v[16:17], v[76:77], v[6:7], v[96:97] op_sel_hi:[0,1,1]
	ds_load_b128 v[4:7], v81 offset:64
	v_pk_fma_f32 v[20:21], v[76:77], v[24:25], v[20:21] op_sel_hi:[0,1,1]
	v_pk_fma_f32 v[24:25], v[76:77], v[28:29], v[86:87] op_sel_hi:[0,1,1]
	;; [unrolled: 1-line block ×7, first 2 shown]
	ds_load_b128 v[82:85], v81 offset:224
	s_wait_dscnt 0x3
	v_pk_fma_f32 v[56:57], v[76:77], v[60:61], v[56:57] op_sel_hi:[0,1,1]
	v_pk_fma_f32 v[34:35], v[76:77], v[34:35], v[98:99] op_sel_hi:[0,1,1]
	;; [unrolled: 1-line block ×5, first 2 shown]
	s_wait_dscnt 0x1
	v_pk_fma_f32 v[30:31], v[76:77], v[4:5], v[30:31] op_sel_hi:[0,1,1]
	v_pk_fma_f32 v[28:29], v[76:77], v[6:7], v[88:89] op_sel_hi:[0,1,1]
	ds_load_b128 v[4:7], v81 offset:112
	v_pk_fma_f32 v[36:37], v[76:77], v[40:41], v[102:103] op_sel_hi:[0,1,1]
	ds_load_b128 v[86:89], v81 offset:256
	v_pk_fma_f32 v[38:39], v[76:77], v[38:39], v[100:101] op_sel_hi:[0,1,1]
	s_wait_dscnt 0x1
	v_pk_fma_f32 v[42:43], v[76:77], v[4:5], v[42:43] op_sel_hi:[0,1,1]
	v_pk_fma_f32 v[40:41], v[76:77], v[6:7], v[104:105] op_sel_hi:[0,1,1]
	ds_load_b128 v[4:7], v81 offset:160
	s_wait_dscnt 0x0
	v_pk_fma_f32 v[54:55], v[76:77], v[4:5], v[54:55] op_sel_hi:[0,1,1]
	v_pk_fma_f32 v[52:53], v[76:77], v[6:7], v[112:113] op_sel_hi:[0,1,1]
	ds_load_b128 v[4:7], v81 offset:208
	v_pk_fma_f32 v[60:61], v[76:77], v[64:65], v[118:119] op_sel_hi:[0,1,1]
	v_pk_fma_f32 v[62:63], v[76:77], v[62:63], v[116:117] op_sel_hi:[0,1,1]
	s_wait_dscnt 0x0
	v_pk_fma_f32 v[70:71], v[76:77], v[4:5], v[70:71] op_sel_hi:[0,1,1]
	v_pk_fma_f32 v[68:69], v[76:77], v[6:7], v[68:69] op_sel_hi:[0,1,1]
	ds_load_b128 v[4:7], v81 offset:240
	v_pk_fma_f32 v[66:67], v[76:77], v[82:83], v[66:67] op_sel_hi:[0,1,1]
	v_pk_fma_f32 v[64:65], v[76:77], v[84:85], v[120:121] op_sel_hi:[0,1,1]
	ds_load_b128 v[82:85], v81 offset:272
	v_fma_f32 v90, v14, v86, 0
	s_delay_alu instid0(VALU_DEP_1) | instskip(NEXT) | instid1(VALU_DEP_1)
	v_fmac_f32_e32 v90, v15, v87
	v_fmac_f32_e32 v90, v12, v88
	s_delay_alu instid0(VALU_DEP_1)
	v_fmac_f32_e32 v90, v13, v89
	ds_load_b128 v[86:89], v81 offset:288
	s_wait_dscnt 0x2
	v_pk_fma_f32 v[8:9], v[76:77], v[4:5], v[0:1] op_sel_hi:[0,1,1]
	v_pk_mul_f32 v[0:1], v[10:11], v[2:3]
	s_wait_dscnt 0x1
	v_fmac_f32_e32 v90, v18, v82
	s_delay_alu instid0(VALU_DEP_2) | instskip(NEXT) | instid1(VALU_DEP_2)
	v_pk_fma_f32 v[10:11], v[76:77], v[6:7], v[0:1] op_sel_hi:[0,1,1]
	v_fmac_f32_e32 v90, v19, v83
	s_delay_alu instid0(VALU_DEP_1) | instskip(NEXT) | instid1(VALU_DEP_1)
	v_fmac_f32_e32 v90, v16, v84
	v_fmac_f32_e32 v90, v17, v85
	ds_load_b128 v[82:85], v81 offset:304
	s_wait_dscnt 0x1
	v_fmac_f32_e32 v90, v22, v86
	s_delay_alu instid0(VALU_DEP_1) | instskip(NEXT) | instid1(VALU_DEP_1)
	v_fmac_f32_e32 v90, v23, v87
	v_fmac_f32_e32 v90, v20, v88
	s_delay_alu instid0(VALU_DEP_1) | instskip(SKIP_3) | instid1(VALU_DEP_1)
	v_fmac_f32_e32 v90, v21, v89
	ds_load_b128 v[86:89], v81 offset:320
	s_wait_dscnt 0x1
	v_fmac_f32_e32 v90, v26, v82
	v_fmac_f32_e32 v90, v27, v83
	s_delay_alu instid0(VALU_DEP_1) | instskip(NEXT) | instid1(VALU_DEP_1)
	v_fmac_f32_e32 v90, v24, v84
	v_fmac_f32_e32 v90, v25, v85
	ds_load_b128 v[82:85], v81 offset:336
	s_wait_dscnt 0x1
	v_fmac_f32_e32 v90, v30, v86
	s_delay_alu instid0(VALU_DEP_1) | instskip(NEXT) | instid1(VALU_DEP_1)
	v_fmac_f32_e32 v90, v31, v87
	v_fmac_f32_e32 v90, v28, v88
	s_delay_alu instid0(VALU_DEP_1) | instskip(SKIP_3) | instid1(VALU_DEP_1)
	v_fmac_f32_e32 v90, v29, v89
	ds_load_b128 v[86:89], v81 offset:352
	s_wait_dscnt 0x1
	v_fmac_f32_e32 v90, v34, v82
	;; [unrolled: 15-line block ×5, first 2 shown]
	v_fmac_f32_e32 v90, v59, v83
	s_delay_alu instid0(VALU_DEP_1) | instskip(NEXT) | instid1(VALU_DEP_1)
	v_fmac_f32_e32 v90, v56, v84
	v_fmac_f32_e32 v90, v57, v85
	ds_load_b128 v[82:85], v81 offset:448
	s_wait_dscnt 0x1
	v_pk_mul_f32 v[86:87], v[70:71], v[86:87]
	v_pk_mul_f32 v[88:89], v[68:69], v[88:89]
	s_wait_dscnt 0x0
	v_fmac_f32_e32 v90, v62, v82
	s_delay_alu instid0(VALU_DEP_1) | instskip(NEXT) | instid1(VALU_DEP_1)
	v_fmac_f32_e32 v90, v63, v83
	v_fmac_f32_e32 v90, v60, v84
	s_delay_alu instid0(VALU_DEP_1) | instskip(SKIP_2) | instid1(VALU_DEP_1)
	v_fmac_f32_e32 v90, v61, v85
	ds_load_b128 v[82:85], v81 offset:480
	v_add_f32_e32 v86, v90, v86
	v_add_f32_e32 v86, v86, v87
	s_delay_alu instid0(VALU_DEP_1) | instskip(NEXT) | instid1(VALU_DEP_1)
	v_add_f32_e32 v86, v86, v88
	v_add_f32_e32 v90, v86, v89
	ds_load_b128 v[86:89], v81 offset:496
	s_wait_dscnt 0x1
	v_pk_mul_f32 v[82:83], v[66:67], v[82:83]
	v_pk_mul_f32 v[84:85], v[64:65], v[84:85]
	s_delay_alu instid0(VALU_DEP_2) | instskip(NEXT) | instid1(VALU_DEP_1)
	v_add_f32_e32 v82, v90, v82
	v_add_f32_e32 v82, v82, v83
	s_delay_alu instid0(VALU_DEP_1) | instskip(SKIP_2) | instid1(VALU_DEP_2)
	v_add_f32_e32 v4, v82, v84
	s_wait_dscnt 0x0
	v_pk_mul_f32 v[2:3], v[8:9], v[86:87]
	v_add_f32_e32 v4, v4, v85
	v_pk_mul_f32 v[0:1], v[10:11], v[88:89]
	s_delay_alu instid0(VALU_DEP_2) | instskip(NEXT) | instid1(VALU_DEP_1)
	v_add_f32_e32 v2, v4, v2
	v_add_f32_e32 v2, v2, v3
	s_delay_alu instid0(VALU_DEP_1) | instskip(NEXT) | instid1(VALU_DEP_1)
	v_add_f32_e32 v0, v2, v0
	v_add_f32_e32 v2, v0, v1
	v_add_nc_u64_e32 v[0:1], s[14:15], v[74:75]
	v_add_nc_u64_e32 v[74:75], s[0:1], v[74:75]
	s_delay_alu instid0(VALU_DEP_3)
	v_mul_f32_e32 v2, s12, v2
	global_store_b32 v[0:1], v2, off
	s_wait_xcnt 0x0
	s_and_not1_b32 exec_lo, exec_lo, s3
	s_cbranch_execnz .LBB0_2
; %bb.3:
	s_or_b32 exec_lo, exec_lo, s3
.LBB0_4:
	s_delay_alu instid0(SALU_CYCLE_1)
	s_or_b32 exec_lo, exec_lo, s2
	v_mad_u32 v0, s18, s17, v77
	s_wait_loadcnt 0x3e
	s_clause 0x1
	global_store_b32 v0, v14, s[14:15] scale_offset
	global_store_b32 v0, v15, s[14:15] offset:256 scale_offset
	s_wait_loadcnt 0x3d
	global_store_b32 v0, v12, s[14:15] offset:512 scale_offset
	s_wait_loadcnt 0x3c
	;; [unrolled: 2-line block ×62, first 2 shown]
	global_store_b32 v0, v11, s[14:15] offset:16128 scale_offset
	s_sendmsg sendmsg(MSG_DEALLOC_VGPRS)
	s_endpgm
	.section	.rodata,"a",@progbits
	.p2align	6, 0x0
	.amdhsa_kernel _ZL21gated_linear_attn_f32ILi64EEviiiifPKfS1_S1_S1_S1_Pf
		.amdhsa_group_segment_fixed_size 768
		.amdhsa_private_segment_fixed_size 0
		.amdhsa_kernarg_size 72
		.amdhsa_user_sgpr_count 2
		.amdhsa_user_sgpr_dispatch_ptr 0
		.amdhsa_user_sgpr_queue_ptr 0
		.amdhsa_user_sgpr_kernarg_segment_ptr 1
		.amdhsa_user_sgpr_dispatch_id 0
		.amdhsa_user_sgpr_kernarg_preload_length 0
		.amdhsa_user_sgpr_kernarg_preload_offset 0
		.amdhsa_user_sgpr_private_segment_size 0
		.amdhsa_wavefront_size32 1
		.amdhsa_uses_dynamic_stack 0
		.amdhsa_enable_private_segment 0
		.amdhsa_system_sgpr_workgroup_id_x 1
		.amdhsa_system_sgpr_workgroup_id_y 0
		.amdhsa_system_sgpr_workgroup_id_z 0
		.amdhsa_system_sgpr_workgroup_info 0
		.amdhsa_system_vgpr_workitem_id 0
		.amdhsa_next_free_vgpr 122
		.amdhsa_next_free_sgpr 20
		.amdhsa_named_barrier_count 0
		.amdhsa_reserve_vcc 1
		.amdhsa_float_round_mode_32 0
		.amdhsa_float_round_mode_16_64 0
		.amdhsa_float_denorm_mode_32 3
		.amdhsa_float_denorm_mode_16_64 3
		.amdhsa_fp16_overflow 0
		.amdhsa_memory_ordered 1
		.amdhsa_forward_progress 1
		.amdhsa_inst_pref_size 32
		.amdhsa_round_robin_scheduling 0
		.amdhsa_exception_fp_ieee_invalid_op 0
		.amdhsa_exception_fp_denorm_src 0
		.amdhsa_exception_fp_ieee_div_zero 0
		.amdhsa_exception_fp_ieee_overflow 0
		.amdhsa_exception_fp_ieee_underflow 0
		.amdhsa_exception_fp_ieee_inexact 0
		.amdhsa_exception_int_div_zero 0
	.end_amdhsa_kernel
	.section	.text._ZL21gated_linear_attn_f32ILi64EEviiiifPKfS1_S1_S1_S1_Pf,"axG",@progbits,_ZL21gated_linear_attn_f32ILi64EEviiiifPKfS1_S1_S1_S1_Pf,comdat
.Lfunc_end0:
	.size	_ZL21gated_linear_attn_f32ILi64EEviiiifPKfS1_S1_S1_S1_Pf, .Lfunc_end0-_ZL21gated_linear_attn_f32ILi64EEviiiifPKfS1_S1_S1_S1_Pf
                                        ; -- End function
	.set _ZL21gated_linear_attn_f32ILi64EEviiiifPKfS1_S1_S1_S1_Pf.num_vgpr, 122
	.set _ZL21gated_linear_attn_f32ILi64EEviiiifPKfS1_S1_S1_S1_Pf.num_agpr, 0
	.set _ZL21gated_linear_attn_f32ILi64EEviiiifPKfS1_S1_S1_S1_Pf.numbered_sgpr, 20
	.set _ZL21gated_linear_attn_f32ILi64EEviiiifPKfS1_S1_S1_S1_Pf.num_named_barrier, 0
	.set _ZL21gated_linear_attn_f32ILi64EEviiiifPKfS1_S1_S1_S1_Pf.private_seg_size, 0
	.set _ZL21gated_linear_attn_f32ILi64EEviiiifPKfS1_S1_S1_S1_Pf.uses_vcc, 1
	.set _ZL21gated_linear_attn_f32ILi64EEviiiifPKfS1_S1_S1_S1_Pf.uses_flat_scratch, 0
	.set _ZL21gated_linear_attn_f32ILi64EEviiiifPKfS1_S1_S1_S1_Pf.has_dyn_sized_stack, 0
	.set _ZL21gated_linear_attn_f32ILi64EEviiiifPKfS1_S1_S1_S1_Pf.has_recursion, 0
	.set _ZL21gated_linear_attn_f32ILi64EEviiiifPKfS1_S1_S1_S1_Pf.has_indirect_call, 0
	.section	.AMDGPU.csdata,"",@progbits
; Kernel info:
; codeLenInByte = 3976
; TotalNumSgprs: 22
; NumVgprs: 122
; ScratchSize: 0
; MemoryBound: 0
; FloatMode: 240
; IeeeMode: 1
; LDSByteSize: 768 bytes/workgroup (compile time only)
; SGPRBlocks: 0
; VGPRBlocks: 7
; NumSGPRsForWavesPerEU: 22
; NumVGPRsForWavesPerEU: 122
; NamedBarCnt: 0
; Occupancy: 8
; WaveLimiterHint : 1
; COMPUTE_PGM_RSRC2:SCRATCH_EN: 0
; COMPUTE_PGM_RSRC2:USER_SGPR: 2
; COMPUTE_PGM_RSRC2:TRAP_HANDLER: 0
; COMPUTE_PGM_RSRC2:TGID_X_EN: 1
; COMPUTE_PGM_RSRC2:TGID_Y_EN: 0
; COMPUTE_PGM_RSRC2:TGID_Z_EN: 0
; COMPUTE_PGM_RSRC2:TIDIG_COMP_CNT: 0
	.section	.text._ZL21gated_linear_attn_f32ILi128EEviiiifPKfS1_S1_S1_S1_Pf,"axG",@progbits,_ZL21gated_linear_attn_f32ILi128EEviiiifPKfS1_S1_S1_S1_Pf,comdat
	.globl	_ZL21gated_linear_attn_f32ILi128EEviiiifPKfS1_S1_S1_S1_Pf ; -- Begin function _ZL21gated_linear_attn_f32ILi128EEviiiifPKfS1_S1_S1_S1_Pf
	.p2align	8
	.type	_ZL21gated_linear_attn_f32ILi128EEviiiifPKfS1_S1_S1_S1_Pf,@function
_ZL21gated_linear_attn_f32ILi128EEviiiifPKfS1_S1_S1_S1_Pf: ; @_ZL21gated_linear_attn_f32ILi128EEviiiifPKfS1_S1_S1_S1_Pf
; %bb.0:
	s_clause 0x1
	s_load_b128 s[16:19], s[0:1], 0x0
	s_load_b128 s[12:15], s[0:1], 0x38
	s_bfe_u32 s3, ttmp6, 0x4000c
	s_and_b32 s2, ttmp6, 15
	s_add_co_i32 s3, s3, 1
	s_getreg_b32 s4, hwreg(HW_REG_IB_STS2, 6, 4)
	s_mul_i32 s3, ttmp9, s3
	v_mov_b32_e32 v30, v0
	s_add_co_i32 s3, s2, s3
	s_cmp_eq_u32 s4, 0
	s_mov_b32 s2, 0
	s_cselect_b32 s4, ttmp9, s3
	s_delay_alu instid0(SALU_CYCLE_1)
	s_abs_i32 s5, s4
	s_wait_kmcnt 0x0
	s_abs_i32 s6, s19
	s_xor_b32 s3, s4, s19
	s_cvt_f32_u32 s7, s6
	s_sub_co_i32 s8, 0, s6
	s_ashr_i32 s3, s3, 31
	s_delay_alu instid0(SALU_CYCLE_1) | instskip(SKIP_1) | instid1(TRANS32_DEP_1)
	v_rcp_iflag_f32_e32 v0, s7
	v_nop
	v_readfirstlane_b32 s7, v0
	s_mul_f32 s7, s7, 0x4f7ffffe
	s_delay_alu instid0(SALU_CYCLE_3) | instskip(NEXT) | instid1(SALU_CYCLE_3)
	s_cvt_u32_f32 s7, s7
	s_mul_i32 s8, s8, s7
	s_delay_alu instid0(SALU_CYCLE_1) | instskip(NEXT) | instid1(SALU_CYCLE_1)
	s_mul_hi_u32 s8, s7, s8
	s_add_co_i32 s7, s7, s8
	s_delay_alu instid0(SALU_CYCLE_1) | instskip(NEXT) | instid1(SALU_CYCLE_1)
	s_mul_hi_u32 s7, s5, s7
	s_mul_i32 s8, s7, s6
	s_delay_alu instid0(SALU_CYCLE_1)
	s_sub_co_i32 s5, s5, s8
	s_add_co_i32 s8, s7, 1
	s_sub_co_i32 s9, s5, s6
	s_cmp_ge_u32 s5, s6
	s_cselect_b32 s7, s8, s7
	s_cselect_b32 s5, s9, s5
	s_add_co_i32 s8, s7, 1
	s_cmp_ge_u32 s5, s6
	s_cselect_b32 s5, s8, s7
	s_abs_i32 s7, s16
	s_xor_b32 s5, s5, s3
	s_cvt_f32_u32 s8, s7
	s_sub_co_i32 s3, s5, s3
	s_sub_co_i32 s9, 0, s7
	s_mul_i32 s5, s3, s19
	s_delay_alu instid0(SALU_CYCLE_1) | instskip(SKIP_3) | instid1(SALU_CYCLE_1)
	s_sub_co_i32 s4, s4, s5
	s_mul_i32 s5, s18, s3
	s_lshl_b32 s6, s4, 14
	s_lshl_b32 s5, s5, 7
	v_add3_u32 v100, s6, s5, v30
	s_abs_i32 s6, s17
	s_xor_b32 s5, s17, s16
	s_clause 0x1
	global_load_b32 v0, v100, s[12:13] scale_offset
	global_load_b32 v1, v100, s[12:13] offset:512 scale_offset
	s_ashr_i32 s5, s5, 31
	s_wait_loadcnt 0x0
	scratch_store_b64 off, v[0:1], off offset:8 ; 8-byte Folded Spill
	s_clause 0x1
	global_load_b32 v0, v100, s[12:13] offset:1024 scale_offset
	global_load_b32 v1, v100, s[12:13] offset:1536 scale_offset
	s_wait_loadcnt 0x0
	scratch_store_b64 off, v[0:1], off      ; 8-byte Folded Spill
	s_clause 0x3e
	global_load_b32 v124, v100, s[12:13] offset:2048 scale_offset
	global_load_b32 v125, v100, s[12:13] offset:2560 scale_offset
	;; [unrolled: 1-line block ×63, first 2 shown]
	s_clause 0x6
	global_load_b32 v61, v100, s[12:13] offset:34304 scale_offset
	global_load_b32 v62, v100, s[12:13] offset:34816 scale_offset
	global_load_b32 v63, v100, s[12:13] offset:35328 scale_offset
	global_load_b32 v28, v100, s[12:13] offset:35840 scale_offset
	global_load_b32 v29, v100, s[12:13] offset:36352 scale_offset
	global_load_b32 v0, v100, s[12:13] offset:36864 scale_offset
	global_load_b32 v1, v100, s[12:13] offset:37376 scale_offset
	s_wait_loadcnt 0x0
	scratch_store_b64 off, v[0:1], off offset:152 ; 8-byte Folded Spill
	s_clause 0x5
	global_load_b32 v96, v100, s[12:13] offset:37888 scale_offset
	global_load_b32 v97, v100, s[12:13] offset:38400 scale_offset
	;; [unrolled: 1-line block ×6, first 2 shown]
	s_wait_loadcnt 0x0
	scratch_store_b64 off, v[0:1], off offset:160 ; 8-byte Folded Spill
	s_clause 0x1
	global_load_b32 v0, v100, s[12:13] offset:40960 scale_offset
	global_load_b32 v1, v100, s[12:13] offset:41472 scale_offset
	s_wait_loadcnt 0x0
	scratch_store_b64 off, v[0:1], off offset:136 ; 8-byte Folded Spill
	s_clause 0x1
	global_load_b32 v0, v100, s[12:13] offset:41984 scale_offset
	global_load_b32 v1, v100, s[12:13] offset:42496 scale_offset
	;; [unrolled: 5-line block ×3, first 2 shown]
	global_load_b32 v44, v100, s[12:13] offset:44032 scale_offset
	global_load_b32 v45, v100, s[12:13] offset:44544 scale_offset
	;; [unrolled: 1-line block ×4, first 2 shown]
	s_wait_loadcnt 0x0
	scratch_store_b64 off, v[0:1], off offset:104 ; 8-byte Folded Spill
	s_clause 0x1
	global_load_b32 v0, v100, s[12:13] offset:46080 scale_offset
	global_load_b32 v1, v100, s[12:13] offset:46592 scale_offset
	s_wait_loadcnt 0x0
	scratch_store_b64 off, v[0:1], off offset:96 ; 8-byte Folded Spill
	s_clause 0x3
	global_load_b32 v38, v100, s[12:13] offset:47104 scale_offset
	global_load_b32 v39, v100, s[12:13] offset:47616 scale_offset
	;; [unrolled: 1-line block ×4, first 2 shown]
	s_wait_loadcnt 0x0
	scratch_store_b64 off, v[0:1], off offset:144 ; 8-byte Folded Spill
	s_clause 0x1
	global_load_b32 v0, v100, s[12:13] offset:49152 scale_offset
	global_load_b32 v1, v100, s[12:13] offset:49664 scale_offset
	s_wait_loadcnt 0x0
	scratch_store_b64 off, v[0:1], off offset:88 ; 8-byte Folded Spill
	s_clause 0x1
	global_load_b32 v0, v100, s[12:13] offset:50176 scale_offset
	global_load_b32 v1, v100, s[12:13] offset:50688 scale_offset
	;; [unrolled: 5-line block ×5, first 2 shown]
	global_load_b32 v0, v100, s[12:13] offset:54272 scale_offset
	global_load_b32 v1, v100, s[12:13] offset:54784 scale_offset
	s_wait_loadcnt 0x0
	scratch_store_b64 off, v[0:1], off offset:64 ; 8-byte Folded Spill
	s_clause 0x3
	global_load_b32 v20, v100, s[12:13] offset:55296 scale_offset
	global_load_b32 v21, v100, s[12:13] offset:55808 scale_offset
	global_load_b32 v0, v100, s[12:13] offset:56320 scale_offset
	global_load_b32 v1, v100, s[12:13] offset:56832 scale_offset
	s_wait_loadcnt 0x0
	scratch_store_b64 off, v[0:1], off offset:56 ; 8-byte Folded Spill
	s_clause 0x3
	global_load_b32 v16, v100, s[12:13] offset:57344 scale_offset
	global_load_b32 v17, v100, s[12:13] offset:57856 scale_offset
	;; [unrolled: 7-line block ×4, first 2 shown]
	s_wait_loadcnt 0x0
	scratch_store_b64 off, v[0:1], off offset:32 ; 8-byte Folded Spill
	s_clause 0x1
	global_load_b32 v0, v100, s[12:13] offset:62464 scale_offset
	global_load_b32 v1, v100, s[12:13] offset:62976 scale_offset
	s_wait_loadcnt 0x0
	scratch_store_b64 off, v[0:1], off offset:24 ; 8-byte Folded Spill
	s_clause 0x1
	global_load_b32 v0, v100, s[12:13] offset:63488 scale_offset
	global_load_b32 v1, v100, s[12:13] offset:64000 scale_offset
	;; [unrolled: 5-line block ×3, first 2 shown]
	s_wait_loadcnt 0x0
	scratch_store_b64 off, v[0:1], off offset:80 ; 8-byte Folded Spill
	s_wait_xcnt 0x0
	v_rcp_iflag_f32_e32 v0, s8
	v_nop
	s_delay_alu instid0(TRANS32_DEP_1) | instskip(SKIP_2) | instid1(SALU_CYCLE_3)
	v_readfirstlane_b32 s8, v0
	v_lshl_add_u32 v0, s4, 7, v30
	s_mul_f32 s8, s8, 0x4f7ffffe
	s_cvt_u32_f32 s8, s8
	s_delay_alu instid0(SALU_CYCLE_3) | instskip(NEXT) | instid1(SALU_CYCLE_1)
	s_mul_i32 s9, s9, s8
	s_mul_hi_u32 s9, s8, s9
	s_delay_alu instid0(SALU_CYCLE_1) | instskip(NEXT) | instid1(SALU_CYCLE_1)
	s_add_co_i32 s8, s8, s9
	s_mul_hi_u32 s8, s6, s8
	s_delay_alu instid0(SALU_CYCLE_1) | instskip(NEXT) | instid1(SALU_CYCLE_1)
	s_mul_i32 s9, s8, s7
	s_sub_co_i32 s6, s6, s9
	s_add_co_i32 s9, s8, 1
	s_sub_co_i32 s10, s6, s7
	s_cmp_ge_u32 s6, s7
	s_cselect_b32 s8, s9, s8
	s_cselect_b32 s6, s10, s6
	s_add_co_i32 s9, s8, 1
	s_cmp_ge_u32 s6, s7
	s_cselect_b32 s6, s9, s8
	s_delay_alu instid0(SALU_CYCLE_1) | instskip(NEXT) | instid1(SALU_CYCLE_1)
	s_xor_b32 s6, s6, s5
	s_sub_co_i32 s5, s6, s5
	s_delay_alu instid0(SALU_CYCLE_1) | instskip(NEXT) | instid1(SALU_CYCLE_1)
	s_mul_i32 s5, s5, s18
	v_mad_u32 v104, s5, s3, v0
	s_add_co_i32 s3, s3, 1
	s_delay_alu instid0(SALU_CYCLE_1) | instskip(SKIP_1) | instid1(VALU_DEP_1)
	v_mad_u32 v0, s5, s3, v0
	s_mov_b32 s3, exec_lo
	v_cmpx_lt_i32_e64 v104, v0
	s_cbranch_execz .LBB1_4
; %bb.1:
	v_dual_lshlrev_b32 v1, 2, v30 :: v_dual_ashrrev_i32 v105, 31, v104
	scratch_store_b32 off, v100, off offset:320 ; 4-byte Folded Spill
	s_clause 0x1
	s_load_b32 s12, s[0:1], 0x10
	s_load_b256 s[4:11], s[0:1], 0x18
	v_mov_b64_e32 v[14:15], v[4:5]
	s_clause 0xa
	scratch_store_b32 off, v1, off offset:316
	scratch_store_b64 off, v[106:107], off offset:168
	scratch_store_b64 off, v[2:3], off offset:184
	;; [unrolled: 1-line block ×8, first 2 shown]
	scratch_load_b64 v[34:35], off, off
	scratch_load_b64 v[36:37], off, off offset:8
	s_wait_xcnt 0x9
	v_lshlrev_b64_e32 v[106:107], 2, v[104:105]
	v_mov_b64_e32 v[30:31], v[8:9]
	v_mov_b32_e32 v105, 0
	s_ashr_i32 s19, s18, 31
	scratch_store_b32 off, v0, off offset:312 ; 4-byte Folded Spill
	s_lshl_b64 s[0:1], s[18:19], 2
.LBB1_2:                                ; =>This Inner Loop Header: Depth=1
	s_wait_kmcnt 0x0
	s_wait_xcnt 0x0
	v_add_nc_u64_e32 v[0:1], s[4:5], v[106:107]
	s_wait_loadcnt 0x0
	s_wait_storecnt 0x0
	s_barrier_signal -1
	s_barrier_wait -1
	v_add_nc_u32_e32 v104, s18, v104
	global_load_b32 v2, v[0:1], off
	s_wait_xcnt 0x0
	v_add_nc_u64_e32 v[0:1], s[8:9], v[106:107]
	global_load_b32 v3, v[0:1], off
	s_wait_xcnt 0x0
	v_add_nc_u64_e32 v[0:1], s[10:11], v[106:107]
	global_load_b32 v0, v[0:1], off
	scratch_load_b32 v4, off, off offset:316 ; 4-byte Folded Reload
	s_wait_loadcnt 0x0
	s_wait_xcnt 0x1
	v_add_nc_u32_e32 v1, 0x200, v4
	ds_store_b32 v4, v2
	ds_store_b32 v1, v3
	v_add_nc_u32_e32 v1, 0x400, v4
	ds_store_b32 v1, v0
	s_wait_dscnt 0x0
	s_barrier_signal -1
	s_barrier_wait -1
	ds_load_b128 v[6:9], v105 offset:1024
	ds_load_b128 v[10:13], v105 offset:1040
	s_wait_dscnt 0x1
	v_pk_mul_f32 v[0:1], v[36:37], v[6:7]
	s_wait_dscnt 0x0
	v_pk_mul_f32 v[124:125], v[124:125], v[10:11]
	v_pk_mul_f32 v[122:123], v[122:123], v[12:13]
	scratch_store_b64 off, v[0:1], off      ; 8-byte Folded Spill
	s_wait_xcnt 0x0
	v_pk_mul_f32 v[0:1], v[34:35], v[8:9]
	scratch_store_b64 off, v[0:1], off offset:232 ; 8-byte Folded Spill
	ds_load_b128 v[6:9], v105 offset:1056
	ds_load_b128 v[10:13], v105 offset:1072
	scratch_load_b64 v[0:1], off, off offset:168 th:TH_LOAD_LU ; 8-byte Folded Reload
	s_wait_loadcnt_dscnt 0x1
	v_pk_mul_f32 v[0:1], v[0:1], v[6:7]
	scratch_store_b64 off, v[0:1], off offset:168 ; 8-byte Folded Spill
	s_wait_xcnt 0x0
	v_pk_mul_f32 v[0:1], v[116:117], v[8:9]
	scratch_store_b64 off, v[0:1], off offset:240 ; 8-byte Folded Spill
	s_wait_dscnt 0x0
	s_wait_xcnt 0x0
	v_pk_mul_f32 v[0:1], v[102:103], v[10:11]
	scratch_store_b64 off, v[0:1], off offset:272 ; 8-byte Folded Spill
	s_wait_xcnt 0x0
	v_pk_mul_f32 v[0:1], v[30:31], v[12:13]
	scratch_store_b64 off, v[0:1], off offset:248 ; 8-byte Folded Spill
	ds_load_b128 v[6:9], v105 offset:1088
	ds_load_b128 v[10:13], v105 offset:1104
	scratch_load_b64 v[0:1], off, off offset:176 th:TH_LOAD_LU ; 8-byte Folded Reload
	s_wait_loadcnt_dscnt 0x1
	v_pk_mul_f32 v[0:1], v[0:1], v[6:7]
	s_clause 0x1
	scratch_store_b64 off, v[0:1], off offset:176
	scratch_load_b64 v[0:1], off, off offset:200 th:TH_LOAD_LU
	s_wait_loadcnt 0x0
	v_pk_mul_f32 v[0:1], v[0:1], v[8:9]
	scratch_store_b64 off, v[0:1], off offset:200 ; 8-byte Folded Spill
	s_wait_dscnt 0x0
	s_wait_xcnt 0x0
	v_pk_mul_f32 v[0:1], v[14:15], v[10:11]
	scratch_store_b64 off, v[0:1], off offset:256 ; 8-byte Folded Spill
	s_wait_xcnt 0x0
	v_pk_mul_f32 v[0:1], v[120:121], v[12:13]
	scratch_store_b64 off, v[0:1], off offset:264 ; 8-byte Folded Spill
	ds_load_b128 v[6:9], v105 offset:1120
	ds_load_b128 v[10:13], v105 offset:1136
	scratch_load_b64 v[0:1], off, off offset:192 th:TH_LOAD_LU ; 8-byte Folded Reload
	s_wait_loadcnt_dscnt 0x1
	v_pk_mul_f32 v[0:1], v[0:1], v[6:7]
	s_clause 0x1
	scratch_store_b64 off, v[0:1], off offset:192
	scratch_load_b64 v[0:1], off, off offset:208 th:TH_LOAD_LU
	s_wait_loadcnt 0x0
	v_pk_mul_f32 v[110:111], v[0:1], v[8:9]
	scratch_load_b64 v[0:1], off, off offset:216 th:TH_LOAD_LU ; 8-byte Folded Reload
	s_wait_loadcnt_dscnt 0x0
	v_pk_mul_f32 v[0:1], v[0:1], v[10:11]
	s_clause 0x1
	scratch_store_b64 off, v[0:1], off offset:208
	scratch_load_b64 v[0:1], off, off offset:224 th:TH_LOAD_LU
	s_wait_loadcnt 0x0
	v_pk_mul_f32 v[114:115], v[0:1], v[12:13]
	ds_load_b128 v[6:9], v105 offset:1152
	ds_load_b128 v[10:13], v105 offset:1168
	s_wait_dscnt 0x1
	v_pk_mul_f32 v[42:43], v[52:53], v[6:7]
	v_pk_mul_f32 v[94:95], v[112:113], v[8:9]
	s_wait_dscnt 0x0
	v_pk_mul_f32 v[92:93], v[92:93], v[10:11]
	v_pk_mul_f32 v[90:91], v[90:91], v[12:13]
	ds_load_b128 v[6:9], v105 offset:1184
	ds_load_b128 v[10:13], v105 offset:1200
	s_wait_dscnt 0x1
	v_pk_mul_f32 v[88:89], v[84:85], v[6:7]
	v_pk_mul_f32 v[34:35], v[86:87], v[8:9]
	s_wait_dscnt 0x0
	v_pk_mul_f32 v[58:59], v[18:19], v[10:11]
	;; [unrolled: 8-line block ×5, first 2 shown]
	v_pk_mul_f32 v[28:29], v[28:29], v[12:13]
	ds_load_b128 v[6:9], v105 offset:1312
	ds_load_b128 v[10:13], v105 offset:1328
	scratch_load_b64 v[0:1], off, off offset:152 th:TH_LOAD_LU ; 8-byte Folded Reload
	s_wait_dscnt 0x1
	v_pk_mul_f32 v[64:65], v[96:97], v[8:9]
	s_wait_dscnt 0x0
	v_pk_mul_f32 v[54:55], v[54:55], v[10:11]
	s_wait_loadcnt 0x0
	v_pk_mul_f32 v[56:57], v[0:1], v[6:7]
	scratch_load_b64 v[0:1], off, off offset:160 th:TH_LOAD_LU ; 8-byte Folded Reload
	s_wait_loadcnt 0x0
	v_pk_mul_f32 v[52:53], v[0:1], v[12:13]
	ds_load_b128 v[6:9], v105 offset:1344
	ds_load_b128 v[10:13], v105 offset:1360
	scratch_load_b64 v[0:1], off, off offset:136 th:TH_LOAD_LU ; 8-byte Folded Reload
	s_wait_dscnt 0x0
	v_pk_mul_f32 v[46:47], v[46:47], v[10:11]
	v_pk_mul_f32 v[44:45], v[44:45], v[12:13]
	s_wait_loadcnt 0x0
	v_pk_mul_f32 v[72:73], v[0:1], v[6:7]
	scratch_load_b64 v[0:1], off, off offset:128 th:TH_LOAD_LU ; 8-byte Folded Reload
	s_wait_loadcnt 0x0
	v_pk_mul_f32 v[0:1], v[0:1], v[8:9]
	scratch_store_b64 off, v[0:1], off offset:128 ; 8-byte Folded Spill
	ds_load_b128 v[6:9], v105 offset:1376
	ds_load_b128 v[10:13], v105 offset:1392
	scratch_load_b64 v[0:1], off, off offset:104 th:TH_LOAD_LU ; 8-byte Folded Reload
	s_wait_dscnt 0x0
	v_pk_mul_f32 v[38:39], v[38:39], v[10:11]
	s_wait_loadcnt 0x0
	v_pk_mul_f32 v[78:79], v[0:1], v[6:7]
	scratch_load_b64 v[0:1], off, off offset:96 th:TH_LOAD_LU ; 8-byte Folded Reload
	s_wait_loadcnt 0x0
	v_pk_mul_f32 v[48:49], v[0:1], v[8:9]
	scratch_load_b64 v[0:1], off, off offset:144 th:TH_LOAD_LU ; 8-byte Folded Reload
	s_wait_loadcnt 0x0
	v_pk_mul_f32 v[86:87], v[0:1], v[12:13]
	ds_load_b128 v[6:9], v105 offset:1408
	ds_load_b128 v[10:13], v105 offset:1424
	scratch_load_b64 v[0:1], off, off offset:88 th:TH_LOAD_LU ; 8-byte Folded Reload
	s_wait_loadcnt_dscnt 0x1
	v_pk_mul_f32 v[40:41], v[0:1], v[6:7]
	scratch_load_b64 v[0:1], off, off offset:112 th:TH_LOAD_LU ; 8-byte Folded Reload
	s_wait_loadcnt 0x0
	v_pk_mul_f32 v[60:61], v[0:1], v[8:9]
	scratch_load_b64 v[0:1], off, off offset:120 th:TH_LOAD_LU ; 8-byte Folded Reload
	s_wait_loadcnt_dscnt 0x0
	v_pk_mul_f32 v[118:119], v[0:1], v[10:11]
	scratch_load_b64 v[0:1], off, off offset:72 th:TH_LOAD_LU ; 8-byte Folded Reload
	s_wait_loadcnt 0x0
	v_pk_mul_f32 v[32:33], v[0:1], v[12:13]
	ds_load_b128 v[6:9], v105 offset:1440
	ds_load_b128 v[10:13], v105 offset:1456
	scratch_load_b64 v[0:1], off, off offset:64 th:TH_LOAD_LU ; 8-byte Folded Reload
	s_wait_dscnt 0x1
	v_pk_mul_f32 v[24:25], v[24:25], v[6:7]
	s_wait_dscnt 0x0
	v_pk_mul_f32 v[20:21], v[20:21], v[10:11]
	s_wait_loadcnt 0x0
	v_pk_mul_f32 v[26:27], v[0:1], v[8:9]
	scratch_load_b64 v[0:1], off, off offset:56 th:TH_LOAD_LU ; 8-byte Folded Reload
	s_wait_loadcnt 0x0
	v_pk_mul_f32 v[22:23], v[0:1], v[12:13]
	ds_load_b128 v[6:9], v105 offset:1472
	ds_load_b128 v[0:3], v105 offset:1488
	scratch_load_b64 v[4:5], off, off offset:48 th:TH_LOAD_LU ; 8-byte Folded Reload
	s_wait_dscnt 0x1
	v_pk_mul_f32 v[16:17], v[16:17], v[6:7]
	s_wait_loadcnt 0x0
	v_pk_mul_f32 v[18:19], v[4:5], v[8:9]
	scratch_load_b64 v[4:5], off, off offset:184 th:TH_LOAD_LU ; 8-byte Folded Reload
	s_wait_loadcnt_dscnt 0x0
	v_pk_mul_f32 v[12:13], v[4:5], v[0:1]
	scratch_load_b64 v[0:1], off, off offset:40 th:TH_LOAD_LU ; 8-byte Folded Reload
	s_wait_loadcnt 0x0
	v_pk_mul_f32 v[10:11], v[0:1], v[2:3]
	ds_load_b128 v[0:3], v105 offset:1504
	ds_load_b128 v[4:7], v105 offset:1520
	scratch_load_b64 v[8:9], off, off offset:32 th:TH_LOAD_LU ; 8-byte Folded Reload
	s_wait_loadcnt_dscnt 0x1
	v_pk_mul_f32 v[8:9], v[8:9], v[0:1]
	scratch_load_b64 v[0:1], off, off offset:24 th:TH_LOAD_LU ; 8-byte Folded Reload
	s_wait_loadcnt 0x0
	v_pk_mul_f32 v[0:1], v[0:1], v[2:3]
	s_clause 0x1
	scratch_store_b64 off, v[0:1], off offset:24
	scratch_load_b64 v[0:1], off, off offset:16 th:TH_LOAD_LU
	s_wait_loadcnt_dscnt 0x0
	v_pk_mul_f32 v[2:3], v[0:1], v[4:5]
	scratch_load_b64 v[0:1], off, off offset:80 th:TH_LOAD_LU ; 8-byte Folded Reload
	v_add_nc_u64_e32 v[4:5], s[6:7], v[106:107]
	global_load_b32 v108, v[4:5], off
	s_wait_loadcnt 0x1
	v_pk_mul_f32 v[0:1], v[0:1], v[6:7]
	s_wait_xcnt 0x0
	ds_load_b128 v[4:7], v105
	ds_load_b128 v[98:101], v105 offset:16
	scratch_load_b64 v[14:15], off, off th:TH_LOAD_LU ; 8-byte Folded Reload
	s_wait_loadcnt_dscnt 0x1
	v_pk_fma_f32 v[96:97], v[108:109], v[4:5], v[14:15] op_sel_hi:[0,1,1]
	scratch_load_b64 v[4:5], off, off offset:232 th:TH_LOAD_LU ; 8-byte Folded Reload
	s_wait_loadcnt 0x0
	v_pk_fma_f32 v[116:117], v[108:109], v[6:7], v[4:5] op_sel_hi:[0,1,1]
	s_wait_dscnt 0x0
	v_pk_fma_f32 v[4:5], v[108:109], v[98:99], v[124:125] op_sel_hi:[0,1,1]
	scratch_store_b64 off, v[4:5], off offset:304 ; 8-byte Folded Spill
	s_wait_xcnt 0x0
	v_pk_fma_f32 v[4:5], v[108:109], v[100:101], v[122:123] op_sel_hi:[0,1,1]
	scratch_store_b64 off, v[4:5], off offset:296 ; 8-byte Folded Spill
	ds_load_b128 v[98:101], v105 offset:32
	ds_load_b128 v[122:125], v105 offset:48
	scratch_load_b64 v[4:5], off, off offset:168 th:TH_LOAD_LU ; 8-byte Folded Reload
	s_wait_loadcnt_dscnt 0x1
	v_pk_fma_f32 v[102:103], v[108:109], v[98:99], v[4:5] op_sel_hi:[0,1,1]
	scratch_load_b64 v[4:5], off, off offset:240 th:TH_LOAD_LU ; 8-byte Folded Reload
	s_wait_loadcnt 0x0
	v_pk_fma_f32 v[4:5], v[108:109], v[100:101], v[4:5] op_sel_hi:[0,1,1]
	s_clause 0x1
	scratch_store_b64 off, v[4:5], off offset:288
	scratch_load_b64 v[4:5], off, off offset:272 th:TH_LOAD_LU
	s_wait_loadcnt_dscnt 0x0
	v_pk_fma_f32 v[4:5], v[108:109], v[122:123], v[4:5] op_sel_hi:[0,1,1]
	s_clause 0x1
	scratch_store_b64 off, v[4:5], off offset:280
	scratch_load_b64 v[4:5], off, off offset:248 th:TH_LOAD_LU
	s_wait_loadcnt 0x0
	v_pk_fma_f32 v[4:5], v[108:109], v[124:125], v[4:5] op_sel_hi:[0,1,1]
	scratch_store_b64 off, v[4:5], off offset:272 ; 8-byte Folded Spill
	ds_load_b128 v[98:101], v105 offset:64
	ds_load_b128 v[122:125], v105 offset:80
	s_clause 0x1
	scratch_load_b64 v[4:5], off, off offset:176 th:TH_LOAD_LU
	scratch_load_b64 v[6:7], off, off offset:200 th:TH_LOAD_LU
	s_wait_loadcnt_dscnt 0x101
	v_pk_fma_f32 v[4:5], v[108:109], v[98:99], v[4:5] op_sel_hi:[0,1,1]
	s_wait_loadcnt 0x0
	v_pk_fma_f32 v[14:15], v[108:109], v[100:101], v[6:7] op_sel_hi:[0,1,1]
	scratch_load_b64 v[6:7], off, off offset:256 th:TH_LOAD_LU ; 8-byte Folded Reload
	s_wait_loadcnt_dscnt 0x0
	v_pk_fma_f32 v[120:121], v[108:109], v[122:123], v[6:7] op_sel_hi:[0,1,1]
	scratch_load_b64 v[6:7], off, off offset:264 th:TH_LOAD_LU ; 8-byte Folded Reload
	s_wait_loadcnt 0x0
	v_pk_fma_f32 v[6:7], v[108:109], v[124:125], v[6:7] op_sel_hi:[0,1,1]
	scratch_store_b64 off, v[6:7], off offset:256 ; 8-byte Folded Spill
	ds_load_b128 v[122:125], v105 offset:96
	ds_load_b128 v[98:101], v105 offset:112
	scratch_load_b64 v[6:7], off, off offset:192 th:TH_LOAD_LU ; 8-byte Folded Reload
	s_wait_dscnt 0x1
	v_pk_fma_f32 v[110:111], v[108:109], v[124:125], v[110:111] op_sel_hi:[0,1,1]
	s_wait_dscnt 0x0
	v_pk_fma_f32 v[114:115], v[108:109], v[100:101], v[114:115] op_sel_hi:[0,1,1]
	s_wait_loadcnt 0x0
	v_pk_fma_f32 v[112:113], v[108:109], v[122:123], v[6:7] op_sel_hi:[0,1,1]
	scratch_load_b64 v[6:7], off, off offset:208 th:TH_LOAD_LU ; 8-byte Folded Reload
	s_wait_loadcnt 0x0
	v_pk_fma_f32 v[126:127], v[108:109], v[98:99], v[6:7] op_sel_hi:[0,1,1]
	ds_load_b128 v[98:101], v105 offset:128
	ds_load_b128 v[122:125], v105 offset:144
	s_wait_dscnt 0x1
	v_pk_fma_f32 v[6:7], v[108:109], v[98:99], v[42:43] op_sel_hi:[0,1,1]
	scratch_store_b64 off, v[6:7], off offset:248 ; 8-byte Folded Spill
	s_wait_xcnt 0x0
	v_pk_fma_f32 v[6:7], v[108:109], v[100:101], v[94:95] op_sel_hi:[0,1,1]
	s_wait_dscnt 0x0
	v_pk_fma_f32 v[94:95], v[108:109], v[124:125], v[90:91] op_sel_hi:[0,1,1]
	scratch_store_b64 off, v[6:7], off offset:240 ; 8-byte Folded Spill
	s_wait_xcnt 0x0
	v_pk_fma_f32 v[6:7], v[108:109], v[122:123], v[92:93] op_sel_hi:[0,1,1]
	scratch_store_b64 off, v[6:7], off offset:232 ; 8-byte Folded Spill
	ds_load_b128 v[98:101], v105 offset:160
	ds_load_b128 v[122:125], v105 offset:176
	s_wait_dscnt 0x1
	v_pk_fma_f32 v[92:93], v[108:109], v[98:99], v[88:89] op_sel_hi:[0,1,1]
	v_pk_fma_f32 v[90:91], v[108:109], v[100:101], v[34:35] op_sel_hi:[0,1,1]
	s_wait_dscnt 0x0
	v_pk_fma_f32 v[88:89], v[108:109], v[122:123], v[58:59] op_sel_hi:[0,1,1]
	v_pk_fma_f32 v[58:59], v[108:109], v[124:125], v[82:83] op_sel_hi:[0,1,1]
	ds_load_b128 v[98:101], v105 offset:192
	ds_load_b128 v[122:125], v105 offset:208
	s_wait_dscnt 0x1
	v_pk_fma_f32 v[82:83], v[108:109], v[98:99], v[80:81] op_sel_hi:[0,1,1]
	v_pk_fma_f32 v[80:81], v[108:109], v[100:101], v[84:85] op_sel_hi:[0,1,1]
	s_wait_dscnt 0x0
	v_pk_fma_f32 v[36:37], v[108:109], v[122:123], v[36:37] op_sel_hi:[0,1,1]
	v_pk_fma_f32 v[76:77], v[108:109], v[124:125], v[76:77] op_sel_hi:[0,1,1]
	;; [unrolled: 8-line block ×4, first 2 shown]
	ds_load_b128 v[98:101], v105 offset:288
	ds_load_b128 v[122:125], v105 offset:304
	s_wait_dscnt 0x1
	v_pk_fma_f32 v[84:85], v[108:109], v[98:99], v[56:57] op_sel_hi:[0,1,1]
	s_wait_dscnt 0x0
	v_pk_fma_f32 v[42:43], v[108:109], v[124:125], v[52:53] op_sel_hi:[0,1,1]
	v_pk_fma_f32 v[56:57], v[108:109], v[100:101], v[64:65] op_sel_hi:[0,1,1]
	;; [unrolled: 1-line block ×3, first 2 shown]
	s_clause 0x1
	scratch_store_b64 off, v[84:85], off offset:152
	scratch_store_b64 off, v[42:43], off offset:160
	ds_load_b128 v[98:101], v105 offset:320
	ds_load_b128 v[122:125], v105 offset:336
	scratch_load_b64 v[6:7], off, off offset:128 th:TH_LOAD_LU ; 8-byte Folded Reload
	s_wait_dscnt 0x1
	v_pk_fma_f32 v[72:73], v[108:109], v[98:99], v[72:73] op_sel_hi:[0,1,1]
	s_wait_dscnt 0x0
	v_pk_fma_f32 v[46:47], v[108:109], v[122:123], v[46:47] op_sel_hi:[0,1,1]
	v_pk_fma_f32 v[44:45], v[108:109], v[124:125], v[44:45] op_sel_hi:[0,1,1]
	s_wait_loadcnt 0x0
	v_pk_fma_f32 v[68:69], v[108:109], v[100:101], v[6:7] op_sel_hi:[0,1,1]
	s_clause 0x1
	scratch_store_b64 off, v[72:73], off offset:136
	scratch_store_b64 off, v[68:69], off offset:128
	ds_load_b128 v[98:101], v105 offset:352
	ds_load_b128 v[122:125], v105 offset:368
	s_wait_dscnt 0x1
	v_pk_fma_f32 v[52:53], v[108:109], v[98:99], v[78:79] op_sel_hi:[0,1,1]
	v_pk_fma_f32 v[48:49], v[108:109], v[100:101], v[48:49] op_sel_hi:[0,1,1]
	s_wait_dscnt 0x0
	v_pk_fma_f32 v[78:79], v[108:109], v[124:125], v[86:87] op_sel_hi:[0,1,1]
	v_pk_fma_f32 v[38:39], v[108:109], v[122:123], v[38:39] op_sel_hi:[0,1,1]
	s_clause 0x2
	scratch_store_b64 off, v[52:53], off offset:104
	scratch_store_b64 off, v[48:49], off offset:96
	;; [unrolled: 1-line block ×3, first 2 shown]
	ds_load_b128 v[98:101], v105 offset:384
	ds_load_b128 v[122:125], v105 offset:400
	s_wait_dscnt 0x1
	v_pk_fma_f32 v[40:41], v[108:109], v[98:99], v[40:41] op_sel_hi:[0,1,1]
	v_pk_fma_f32 v[60:61], v[108:109], v[100:101], v[60:61] op_sel_hi:[0,1,1]
	s_wait_dscnt 0x0
	v_pk_fma_f32 v[64:65], v[108:109], v[122:123], v[118:119] op_sel_hi:[0,1,1]
	v_pk_fma_f32 v[32:33], v[108:109], v[124:125], v[32:33] op_sel_hi:[0,1,1]
	s_clause 0x3
	scratch_store_b64 off, v[40:41], off offset:88
	scratch_store_b64 off, v[60:61], off offset:112
	;; [unrolled: 1-line block ×4, first 2 shown]
	ds_load_b128 v[98:101], v105 offset:416
	ds_load_b128 v[122:125], v105 offset:432
	s_wait_dscnt 0x1
	v_pk_fma_f32 v[26:27], v[108:109], v[100:101], v[26:27] op_sel_hi:[0,1,1]
	s_wait_dscnt 0x0
	v_pk_fma_f32 v[22:23], v[108:109], v[124:125], v[22:23] op_sel_hi:[0,1,1]
	v_pk_fma_f32 v[24:25], v[108:109], v[98:99], v[24:25] op_sel_hi:[0,1,1]
	;; [unrolled: 1-line block ×3, first 2 shown]
	s_clause 0x1
	scratch_store_b64 off, v[26:27], off offset:64
	scratch_store_b64 off, v[22:23], off offset:56
	ds_load_b128 v[98:101], v105 offset:448
	ds_load_b128 v[122:125], v105 offset:464
	s_wait_dscnt 0x1
	v_pk_fma_f32 v[18:19], v[108:109], v[100:101], v[18:19] op_sel_hi:[0,1,1]
	s_wait_dscnt 0x0
	v_pk_fma_f32 v[86:87], v[108:109], v[124:125], v[10:11] op_sel_hi:[0,1,1]
	v_pk_fma_f32 v[16:17], v[108:109], v[98:99], v[16:17] op_sel_hi:[0,1,1]
	;; [unrolled: 1-line block ×3, first 2 shown]
	s_clause 0x1
	scratch_store_b64 off, v[18:19], off offset:48
	scratch_store_b64 off, v[86:87], off offset:40
	ds_load_b128 v[10:13], v105 offset:480
	ds_load_b128 v[98:101], v105 offset:496
	s_wait_dscnt 0x1
	v_pk_fma_f32 v[6:7], v[108:109], v[10:11], v[8:9] op_sel_hi:[0,1,1]
	scratch_load_b64 v[8:9], off, off offset:24 th:TH_LOAD_LU ; 8-byte Folded Reload
	s_wait_dscnt 0x0
	v_pk_fma_f32 v[122:123], v[108:109], v[98:99], v[2:3] op_sel_hi:[0,1,1]
	v_mov_b64_e32 v[10:11], v[110:111]
	scratch_store_b64 off, v[122:123], off offset:16 ; 8-byte Folded Spill
	s_wait_loadcnt 0x0
	v_pk_fma_f32 v[124:125], v[108:109], v[12:13], v[8:9] op_sel_hi:[0,1,1]
	v_pk_fma_f32 v[12:13], v[108:109], v[100:101], v[0:1] op_sel_hi:[0,1,1]
	v_mov_b64_e32 v[108:109], v[6:7]
	scratch_store_b64 off, v[124:125], off offset:24 ; 8-byte Folded Spill
	ds_load_b128 v[0:3], v105 offset:512
	ds_load_b128 v[6:9], v105 offset:528
	s_clause 0x3
	scratch_load_b64 v[110:111], off, off offset:304
	scratch_load_b64 v[100:101], off, off offset:296
	scratch_store_b64 off, v[96:97], off offset:8
	scratch_store_b64 off, v[116:117], off
	s_wait_dscnt 0x1
	v_fma_f32 v98, v96, v0, 0
	s_delay_alu instid0(VALU_DEP_1) | instskip(NEXT) | instid1(VALU_DEP_1)
	v_fmac_f32_e32 v98, v97, v1
	v_fmac_f32_e32 v98, v116, v2
	s_delay_alu instid0(VALU_DEP_1) | instskip(SKIP_1) | instid1(VALU_DEP_1)
	v_fmac_f32_e32 v98, v117, v3
	s_wait_loadcnt_dscnt 0x100
	v_fmac_f32_e32 v98, v110, v6
	s_delay_alu instid0(VALU_DEP_1) | instskip(SKIP_1) | instid1(VALU_DEP_1)
	v_fmac_f32_e32 v98, v111, v7
	s_wait_loadcnt 0x0
	v_fmac_f32_e32 v98, v100, v8
	s_delay_alu instid0(VALU_DEP_1)
	v_fmac_f32_e32 v98, v101, v9
	ds_load_b128 v[0:3], v105 offset:544
	ds_load_b128 v[6:9], v105 offset:560
	s_clause 0x2
	scratch_load_b64 v[116:117], off, off offset:288
	scratch_load_b64 v[96:97], off, off offset:272
	scratch_store_b64 off, v[102:103], off offset:168
	s_wait_dscnt 0x1
	v_fmac_f32_e32 v98, v102, v0
	s_delay_alu instid0(VALU_DEP_1) | instskip(SKIP_3) | instid1(VALU_DEP_1)
	v_fmac_f32_e32 v98, v103, v1
	scratch_load_b64 v[102:103], off, off offset:280 ; 8-byte Folded Reload
	s_wait_loadcnt 0x2
	v_fmac_f32_e32 v98, v116, v2
	v_fmac_f32_e32 v98, v117, v3
	s_wait_loadcnt_dscnt 0x0
	s_delay_alu instid0(VALU_DEP_1) | instskip(NEXT) | instid1(VALU_DEP_1)
	v_fmac_f32_e32 v98, v102, v6
	v_fmac_f32_e32 v98, v103, v7
	s_delay_alu instid0(VALU_DEP_1) | instskip(NEXT) | instid1(VALU_DEP_1)
	v_fmac_f32_e32 v98, v96, v8
	v_fmac_f32_e32 v98, v97, v9
	ds_load_b128 v[0:3], v105 offset:576
	ds_load_b128 v[6:9], v105 offset:592
	s_clause 0x1
	scratch_store_b64 off, v[4:5], off offset:176
	scratch_store_b64 off, v[14:15], off offset:200
	s_wait_dscnt 0x1
	v_fmac_f32_e32 v98, v4, v0
	s_delay_alu instid0(VALU_DEP_1) | instskip(SKIP_2) | instid1(VALU_DEP_2)
	v_fmac_f32_e32 v98, v5, v1
	s_wait_xcnt 0x1
	v_mov_b64_e32 v[4:5], v[12:13]
	v_fmac_f32_e32 v98, v14, v2
	s_delay_alu instid0(VALU_DEP_1) | instskip(SKIP_3) | instid1(VALU_DEP_2)
	v_fmac_f32_e32 v98, v15, v3
	s_wait_xcnt 0x0
	v_mov_b64_e32 v[14:15], v[120:121]
	s_wait_dscnt 0x0
	v_fmac_f32_e32 v98, v120, v6
	s_delay_alu instid0(VALU_DEP_1) | instskip(SKIP_3) | instid1(VALU_DEP_1)
	v_fmac_f32_e32 v98, v121, v7
	scratch_load_b64 v[120:121], off, off offset:256 ; 8-byte Folded Reload
	s_wait_loadcnt 0x0
	v_fmac_f32_e32 v98, v120, v8
	v_fmac_f32_e32 v98, v121, v9
	ds_load_b128 v[0:3], v105 offset:608
	ds_load_b128 v[6:9], v105 offset:624
	s_clause 0x3
	scratch_store_b64 off, v[112:113], off offset:192
	scratch_store_b64 off, v[10:11], off offset:208
	;; [unrolled: 1-line block ×4, first 2 shown]
	s_wait_dscnt 0x1
	v_fmac_f32_e32 v98, v112, v0
	s_delay_alu instid0(VALU_DEP_1) | instskip(NEXT) | instid1(VALU_DEP_1)
	v_fmac_f32_e32 v98, v113, v1
	v_fmac_f32_e32 v98, v10, v2
	s_delay_alu instid0(VALU_DEP_1) | instskip(SKIP_1) | instid1(VALU_DEP_1)
	v_fmac_f32_e32 v98, v11, v3
	s_wait_dscnt 0x0
	v_fmac_f32_e32 v98, v126, v6
	s_delay_alu instid0(VALU_DEP_1) | instskip(NEXT) | instid1(VALU_DEP_1)
	v_fmac_f32_e32 v98, v127, v7
	v_fmac_f32_e32 v98, v114, v8
	s_delay_alu instid0(VALU_DEP_1)
	v_fmac_f32_e32 v98, v115, v9
	ds_load_b128 v[0:3], v105 offset:640
	ds_load_b128 v[6:9], v105 offset:656
	s_clause 0x2
	scratch_load_b64 v[114:115], off, off offset:248
	scratch_load_b64 v[112:113], off, off offset:240
	;; [unrolled: 1-line block ×3, first 2 shown]
	s_wait_loadcnt_dscnt 0x201
	v_fmac_f32_e32 v98, v114, v0
	s_delay_alu instid0(VALU_DEP_1) | instskip(SKIP_1) | instid1(VALU_DEP_1)
	v_fmac_f32_e32 v98, v115, v1
	s_wait_loadcnt 0x1
	v_fmac_f32_e32 v98, v112, v2
	s_delay_alu instid0(VALU_DEP_1) | instskip(SKIP_1) | instid1(VALU_DEP_1)
	v_fmac_f32_e32 v98, v113, v3
	s_wait_loadcnt_dscnt 0x0
	v_fmac_f32_e32 v98, v126, v6
	s_delay_alu instid0(VALU_DEP_1) | instskip(NEXT) | instid1(VALU_DEP_1)
	v_fmac_f32_e32 v98, v127, v7
	v_fmac_f32_e32 v98, v94, v8
	s_delay_alu instid0(VALU_DEP_1) | instskip(SKIP_4) | instid1(VALU_DEP_1)
	v_fmac_f32_e32 v98, v95, v9
	ds_load_b128 v[0:3], v105 offset:672
	ds_load_b128 v[6:9], v105 offset:688
	s_wait_dscnt 0x1
	v_fmac_f32_e32 v98, v92, v0
	v_fmac_f32_e32 v98, v93, v1
	s_delay_alu instid0(VALU_DEP_1) | instskip(NEXT) | instid1(VALU_DEP_1)
	v_fmac_f32_e32 v98, v90, v2
	v_fmac_f32_e32 v98, v91, v3
	s_wait_dscnt 0x0
	s_delay_alu instid0(VALU_DEP_1) | instskip(NEXT) | instid1(VALU_DEP_1)
	v_fmac_f32_e32 v98, v88, v6
	v_fmac_f32_e32 v98, v89, v7
	s_delay_alu instid0(VALU_DEP_1) | instskip(NEXT) | instid1(VALU_DEP_1)
	v_fmac_f32_e32 v98, v58, v8
	v_fmac_f32_e32 v98, v59, v9
	ds_load_b128 v[0:3], v105 offset:704
	ds_load_b128 v[6:9], v105 offset:720
	s_wait_dscnt 0x1
	v_fmac_f32_e32 v98, v82, v0
	s_delay_alu instid0(VALU_DEP_1) | instskip(NEXT) | instid1(VALU_DEP_1)
	v_fmac_f32_e32 v98, v83, v1
	v_fmac_f32_e32 v98, v80, v2
	s_delay_alu instid0(VALU_DEP_1) | instskip(SKIP_1) | instid1(VALU_DEP_1)
	v_fmac_f32_e32 v98, v81, v3
	s_wait_dscnt 0x0
	v_fmac_f32_e32 v98, v36, v6
	s_delay_alu instid0(VALU_DEP_1) | instskip(NEXT) | instid1(VALU_DEP_1)
	v_fmac_f32_e32 v98, v37, v7
	v_fmac_f32_e32 v98, v76, v8
	s_delay_alu instid0(VALU_DEP_1) | instskip(SKIP_4) | instid1(VALU_DEP_1)
	v_fmac_f32_e32 v98, v77, v9
	ds_load_b128 v[0:3], v105 offset:736
	ds_load_b128 v[6:9], v105 offset:752
	s_wait_dscnt 0x1
	v_fmac_f32_e32 v98, v74, v0
	v_fmac_f32_e32 v98, v75, v1
	s_delay_alu instid0(VALU_DEP_1) | instskip(NEXT) | instid1(VALU_DEP_1)
	v_fmac_f32_e32 v98, v50, v2
	v_fmac_f32_e32 v98, v51, v3
	s_wait_dscnt 0x0
	s_delay_alu instid0(VALU_DEP_1) | instskip(NEXT) | instid1(VALU_DEP_1)
	v_fmac_f32_e32 v98, v70, v6
	v_fmac_f32_e32 v98, v71, v7
	s_delay_alu instid0(VALU_DEP_1) | instskip(NEXT) | instid1(VALU_DEP_1)
	v_fmac_f32_e32 v98, v34, v8
	v_fmac_f32_e32 v98, v35, v9
	ds_load_b128 v[0:3], v105 offset:768
	ds_load_b128 v[6:9], v105 offset:784
	s_wait_dscnt 0x1
	v_fmac_f32_e32 v98, v66, v0
	s_delay_alu instid0(VALU_DEP_1) | instskip(NEXT) | instid1(VALU_DEP_1)
	v_fmac_f32_e32 v98, v67, v1
	v_fmac_f32_e32 v98, v30, v2
	s_delay_alu instid0(VALU_DEP_1) | instskip(SKIP_1) | instid1(VALU_DEP_1)
	v_fmac_f32_e32 v98, v31, v3
	s_wait_dscnt 0x0
	v_fmac_f32_e32 v98, v62, v6
	s_delay_alu instid0(VALU_DEP_1) | instskip(NEXT) | instid1(VALU_DEP_1)
	v_fmac_f32_e32 v98, v63, v7
	v_fmac_f32_e32 v98, v28, v8
	s_delay_alu instid0(VALU_DEP_1) | instskip(SKIP_4) | instid1(VALU_DEP_1)
	v_fmac_f32_e32 v98, v29, v9
	ds_load_b128 v[0:3], v105 offset:800
	ds_load_b128 v[6:9], v105 offset:816
	s_wait_dscnt 0x1
	v_fmac_f32_e32 v98, v84, v0
	v_fmac_f32_e32 v98, v85, v1
	v_mov_b64_e32 v[84:85], v[92:93]
	v_mov_b64_e32 v[92:93], v[126:127]
	s_delay_alu instid0(VALU_DEP_3) | instskip(NEXT) | instid1(VALU_DEP_1)
	v_fmac_f32_e32 v98, v56, v2
	v_fmac_f32_e32 v98, v57, v3
	s_wait_dscnt 0x0
	s_delay_alu instid0(VALU_DEP_1) | instskip(NEXT) | instid1(VALU_DEP_1)
	v_fmac_f32_e32 v98, v54, v6
	v_fmac_f32_e32 v98, v55, v7
	s_delay_alu instid0(VALU_DEP_1) | instskip(NEXT) | instid1(VALU_DEP_1)
	v_fmac_f32_e32 v98, v42, v8
	v_fmac_f32_e32 v98, v43, v9
	ds_load_b128 v[0:3], v105 offset:832
	ds_load_b128 v[6:9], v105 offset:848
	s_wait_dscnt 0x1
	v_fmac_f32_e32 v98, v72, v0
	s_delay_alu instid0(VALU_DEP_1) | instskip(NEXT) | instid1(VALU_DEP_1)
	v_fmac_f32_e32 v98, v73, v1
	v_fmac_f32_e32 v98, v68, v2
	s_delay_alu instid0(VALU_DEP_1) | instskip(SKIP_1) | instid1(VALU_DEP_1)
	v_fmac_f32_e32 v98, v69, v3
	s_wait_dscnt 0x0
	v_fmac_f32_e32 v98, v46, v6
	s_delay_alu instid0(VALU_DEP_1) | instskip(NEXT) | instid1(VALU_DEP_1)
	v_fmac_f32_e32 v98, v47, v7
	v_fmac_f32_e32 v98, v44, v8
	s_delay_alu instid0(VALU_DEP_1) | instskip(SKIP_4) | instid1(VALU_DEP_1)
	v_fmac_f32_e32 v98, v45, v9
	ds_load_b128 v[0:3], v105 offset:864
	ds_load_b128 v[6:9], v105 offset:880
	s_wait_dscnt 0x1
	v_fmac_f32_e32 v98, v52, v0
	v_fmac_f32_e32 v98, v53, v1
	v_mov_b64_e32 v[52:53], v[114:115]
	s_delay_alu instid0(VALU_DEP_2) | instskip(NEXT) | instid1(VALU_DEP_1)
	v_fmac_f32_e32 v98, v48, v2
	v_fmac_f32_e32 v98, v49, v3
	v_mov_b64_e32 v[48:49], v[58:59]
	s_wait_dscnt 0x0
	s_delay_alu instid0(VALU_DEP_2) | instskip(NEXT) | instid1(VALU_DEP_1)
	v_fmac_f32_e32 v98, v38, v6
	v_fmac_f32_e32 v98, v39, v7
	s_delay_alu instid0(VALU_DEP_1) | instskip(NEXT) | instid1(VALU_DEP_1)
	v_fmac_f32_e32 v98, v78, v8
	v_fmac_f32_e32 v98, v79, v9
	ds_load_b128 v[0:3], v105 offset:896
	ds_load_b128 v[6:9], v105 offset:912
	v_mov_b64_e32 v[78:79], v[82:83]
	s_wait_dscnt 0x1
	v_fmac_f32_e32 v98, v40, v0
	s_delay_alu instid0(VALU_DEP_1) | instskip(SKIP_1) | instid1(VALU_DEP_2)
	v_fmac_f32_e32 v98, v41, v1
	v_mov_b64_e32 v[40:41], v[80:81]
	v_fmac_f32_e32 v98, v60, v2
	s_delay_alu instid0(VALU_DEP_1)
	v_fmac_f32_e32 v98, v61, v3
	v_mov_b64_e32 v[60:61], v[30:31]
	v_mov_b64_e32 v[30:31], v[96:97]
	v_mov_b64_e32 v[96:97], v[56:57]
	s_wait_dscnt 0x0
	v_fmac_f32_e32 v98, v64, v6
	s_delay_alu instid0(VALU_DEP_1) | instskip(SKIP_1) | instid1(VALU_DEP_2)
	v_fmac_f32_e32 v98, v65, v7
	v_mov_b64_e32 v[64:65], v[34:35]
	v_fmac_f32_e32 v98, v32, v8
	s_delay_alu instid0(VALU_DEP_1) | instskip(SKIP_4) | instid1(VALU_DEP_1)
	v_fmac_f32_e32 v98, v33, v9
	ds_load_b128 v[0:3], v105 offset:928
	ds_load_b128 v[6:9], v105 offset:944
	s_wait_dscnt 0x1
	v_fmac_f32_e32 v98, v24, v0
	v_fmac_f32_e32 v98, v25, v1
	s_delay_alu instid0(VALU_DEP_1) | instskip(NEXT) | instid1(VALU_DEP_1)
	v_fmac_f32_e32 v98, v26, v2
	v_fmac_f32_e32 v98, v27, v3
	s_wait_dscnt 0x0
	s_delay_alu instid0(VALU_DEP_1) | instskip(NEXT) | instid1(VALU_DEP_1)
	v_fmac_f32_e32 v98, v20, v6
	v_fmac_f32_e32 v98, v21, v7
	s_delay_alu instid0(VALU_DEP_1) | instskip(NEXT) | instid1(VALU_DEP_1)
	v_fmac_f32_e32 v98, v22, v8
	v_fmac_f32_e32 v98, v23, v9
	ds_load_b128 v[0:3], v105 offset:960
	ds_load_b128 v[6:9], v105 offset:976
	scratch_store_b64 off, v[118:119], off offset:184 ; 8-byte Folded Spill
	v_mov_b64_e32 v[22:23], v[36:37]
	s_wait_dscnt 0x1
	v_fmac_f32_e32 v98, v16, v0
	s_wait_dscnt 0x0
	v_pk_mul_f32 v[10:11], v[118:119], v[6:7]
	v_pk_mul_f32 v[12:13], v[86:87], v[8:9]
	v_mov_b64_e32 v[86:87], v[90:91]
	v_mov_b64_e32 v[90:91], v[94:95]
	v_fmac_f32_e32 v98, v17, v1
	s_delay_alu instid0(VALU_DEP_1) | instskip(NEXT) | instid1(VALU_DEP_1)
	v_fmac_f32_e32 v98, v18, v2
	v_fmac_f32_e32 v98, v19, v3
	ds_load_b128 v[0:3], v105 offset:992
	ds_load_b128 v[6:9], v105 offset:1008
	scratch_load_b64 v[36:37], off, off offset:8 ; 8-byte Folded Reload
	v_mov_b64_e32 v[18:19], v[88:89]
	s_clause 0x1
	scratch_store_b64 off, v[108:109], off offset:32
	scratch_store_b64 off, v[4:5], off offset:80
	v_add_f32_e32 v10, v98, v10
	s_delay_alu instid0(VALU_DEP_1) | instskip(NEXT) | instid1(VALU_DEP_1)
	v_add_f32_e32 v10, v10, v11
	v_add_f32_e32 v10, v10, v12
	s_wait_dscnt 0x1
	v_pk_mul_f32 v[0:1], v[108:109], v[0:1]
	s_delay_alu instid0(VALU_DEP_2)
	v_add_f32_e32 v10, v10, v13
	v_pk_mul_f32 v[2:3], v[124:125], v[2:3]
	s_wait_dscnt 0x0
	v_pk_mul_f32 v[6:7], v[122:123], v[6:7]
	v_pk_mul_f32 v[8:9], v[4:5], v[8:9]
	v_mov_b64_e32 v[124:125], v[110:111]
	v_add_f32_e32 v0, v10, v0
	v_mov_b64_e32 v[122:123], v[100:101]
	s_delay_alu instid0(VALU_DEP_2) | instskip(NEXT) | instid1(VALU_DEP_1)
	v_add_f32_e32 v0, v0, v1
	v_add_f32_e32 v0, v0, v2
	s_delay_alu instid0(VALU_DEP_1) | instskip(NEXT) | instid1(VALU_DEP_1)
	v_add_f32_e32 v0, v0, v3
	v_add_f32_e32 v0, v0, v6
	s_delay_alu instid0(VALU_DEP_1) | instskip(NEXT) | instid1(VALU_DEP_1)
	v_add_f32_e32 v0, v0, v7
	v_add_f32_e32 v0, v0, v8
	s_delay_alu instid0(VALU_DEP_1) | instskip(NEXT) | instid1(VALU_DEP_1)
	v_add_f32_e32 v0, v0, v9
	v_mul_f32_e32 v2, s12, v0
	v_add_nc_u64_e32 v[0:1], s[14:15], v[106:107]
	v_add_nc_u64_e32 v[106:107], s[0:1], v[106:107]
	global_store_b32 v[0:1], v2, off
	s_clause 0x1
	scratch_load_b32 v0, off, off offset:312
	scratch_load_b64 v[34:35], off, off
	s_wait_loadcnt 0x1
	v_cmp_ge_i32_e32 vcc_lo, v104, v0
	s_or_b32 s2, vcc_lo, s2
	s_wait_xcnt 0x0
	s_and_not1_b32 exec_lo, exec_lo, s2
	s_cbranch_execnz .LBB1_2
; %bb.3:
	s_or_b32 exec_lo, exec_lo, s2
	s_clause 0x8
	scratch_load_b64 v[2:3], off, off offset:184
	scratch_load_b64 v[6:7], off, off offset:224
	;; [unrolled: 1-line block ×8, first 2 shown]
	scratch_load_b32 v100, off, off offset:320
	v_mov_b64_e32 v[4:5], v[14:15]
	v_mov_b64_e32 v[8:9], v[30:31]
.LBB1_4:
	s_wait_xcnt 0x0
	s_or_b32 exec_lo, exec_lo, s3
	scratch_load_b64 v[104:105], off, off offset:8 th:TH_LOAD_LU ; 8-byte Folded Reload
	s_wait_loadcnt 0x1
	v_mad_u32 v0, s18, s17, v100
	s_wait_loadcnt 0x0
	s_clause 0x1
	global_store_b32 v0, v104, s[14:15] scale_offset
	global_store_b32 v0, v105, s[14:15] offset:512 scale_offset
	scratch_load_b64 v[104:105], off, off th:TH_LOAD_LU ; 8-byte Folded Reload
	s_wait_loadcnt 0x0
	s_clause 0x3e
	global_store_b32 v0, v104, s[14:15] offset:1024 scale_offset
	global_store_b32 v0, v105, s[14:15] offset:1536 scale_offset
	;; [unrolled: 1-line block ×63, first 2 shown]
	s_clause 0x6
	global_store_b32 v0, v67, s[14:15] offset:33280 scale_offset
	global_store_b32 v0, v60, s[14:15] offset:33792 scale_offset
	;; [unrolled: 1-line block ×7, first 2 shown]
	scratch_load_b64 v[4:5], off, off offset:152 th:TH_LOAD_LU ; 8-byte Folded Reload
	s_wait_loadcnt 0x0
	s_clause 0x5
	global_store_b32 v0, v4, s[14:15] offset:36864 scale_offset
	global_store_b32 v0, v5, s[14:15] offset:37376 scale_offset
	;; [unrolled: 1-line block ×6, first 2 shown]
	scratch_load_b64 v[4:5], off, off offset:160 th:TH_LOAD_LU ; 8-byte Folded Reload
	s_wait_loadcnt 0x0
	s_clause 0x1
	global_store_b32 v0, v4, s[14:15] offset:39936 scale_offset
	global_store_b32 v0, v5, s[14:15] offset:40448 scale_offset
	scratch_load_b64 v[4:5], off, off offset:136 th:TH_LOAD_LU ; 8-byte Folded Reload
	s_wait_loadcnt 0x0
	s_clause 0x1
	global_store_b32 v0, v4, s[14:15] offset:40960 scale_offset
	global_store_b32 v0, v5, s[14:15] offset:41472 scale_offset
	;; [unrolled: 5-line block ×3, first 2 shown]
	global_store_b32 v0, v46, s[14:15] offset:43008 scale_offset
	global_store_b32 v0, v47, s[14:15] offset:43520 scale_offset
	;; [unrolled: 1-line block ×4, first 2 shown]
	scratch_load_b64 v[4:5], off, off offset:104 th:TH_LOAD_LU ; 8-byte Folded Reload
	s_wait_loadcnt 0x0
	s_clause 0x1
	global_store_b32 v0, v4, s[14:15] offset:45056 scale_offset
	global_store_b32 v0, v5, s[14:15] offset:45568 scale_offset
	scratch_load_b64 v[4:5], off, off offset:96 th:TH_LOAD_LU ; 8-byte Folded Reload
	s_wait_loadcnt 0x0
	s_clause 0x3
	global_store_b32 v0, v4, s[14:15] offset:46080 scale_offset
	global_store_b32 v0, v5, s[14:15] offset:46592 scale_offset
	;; [unrolled: 1-line block ×4, first 2 shown]
	scratch_load_b64 v[4:5], off, off offset:144 th:TH_LOAD_LU ; 8-byte Folded Reload
	s_wait_loadcnt 0x0
	s_clause 0x1
	global_store_b32 v0, v4, s[14:15] offset:48128 scale_offset
	global_store_b32 v0, v5, s[14:15] offset:48640 scale_offset
	scratch_load_b64 v[4:5], off, off offset:88 th:TH_LOAD_LU ; 8-byte Folded Reload
	s_wait_loadcnt 0x0
	s_clause 0x1
	global_store_b32 v0, v4, s[14:15] offset:49152 scale_offset
	global_store_b32 v0, v5, s[14:15] offset:49664 scale_offset
	;; [unrolled: 5-line block ×5, first 2 shown]
	global_store_b32 v0, v24, s[14:15] offset:53248 scale_offset
	global_store_b32 v0, v25, s[14:15] offset:53760 scale_offset
	scratch_load_b64 v[4:5], off, off offset:64 th:TH_LOAD_LU ; 8-byte Folded Reload
	s_wait_loadcnt 0x0
	s_clause 0x3
	global_store_b32 v0, v4, s[14:15] offset:54272 scale_offset
	global_store_b32 v0, v5, s[14:15] offset:54784 scale_offset
	global_store_b32 v0, v20, s[14:15] offset:55296 scale_offset
	global_store_b32 v0, v21, s[14:15] offset:55808 scale_offset
	scratch_load_b64 v[4:5], off, off offset:56 th:TH_LOAD_LU ; 8-byte Folded Reload
	s_wait_loadcnt 0x0
	s_clause 0x3
	global_store_b32 v0, v4, s[14:15] offset:56320 scale_offset
	global_store_b32 v0, v5, s[14:15] offset:56832 scale_offset
	;; [unrolled: 7-line block ×4, first 2 shown]
	scratch_load_b64 v[2:3], off, off offset:32 th:TH_LOAD_LU ; 8-byte Folded Reload
	s_wait_loadcnt 0x0
	s_clause 0x1
	global_store_b32 v0, v2, s[14:15] offset:61440 scale_offset
	global_store_b32 v0, v3, s[14:15] offset:61952 scale_offset
	scratch_load_b64 v[2:3], off, off offset:24 th:TH_LOAD_LU ; 8-byte Folded Reload
	s_wait_loadcnt 0x0
	s_clause 0x1
	global_store_b32 v0, v2, s[14:15] offset:62464 scale_offset
	global_store_b32 v0, v3, s[14:15] offset:62976 scale_offset
	;; [unrolled: 5-line block ×4, first 2 shown]
	s_sendmsg sendmsg(MSG_DEALLOC_VGPRS)
	s_endpgm
	.section	.rodata,"a",@progbits
	.p2align	6, 0x0
	.amdhsa_kernel _ZL21gated_linear_attn_f32ILi128EEviiiifPKfS1_S1_S1_S1_Pf
		.amdhsa_group_segment_fixed_size 1536
		.amdhsa_private_segment_fixed_size 328
		.amdhsa_kernarg_size 72
		.amdhsa_user_sgpr_count 2
		.amdhsa_user_sgpr_dispatch_ptr 0
		.amdhsa_user_sgpr_queue_ptr 0
		.amdhsa_user_sgpr_kernarg_segment_ptr 1
		.amdhsa_user_sgpr_dispatch_id 0
		.amdhsa_user_sgpr_kernarg_preload_length 0
		.amdhsa_user_sgpr_kernarg_preload_offset 0
		.amdhsa_user_sgpr_private_segment_size 0
		.amdhsa_wavefront_size32 1
		.amdhsa_uses_dynamic_stack 0
		.amdhsa_enable_private_segment 1
		.amdhsa_system_sgpr_workgroup_id_x 1
		.amdhsa_system_sgpr_workgroup_id_y 0
		.amdhsa_system_sgpr_workgroup_id_z 0
		.amdhsa_system_sgpr_workgroup_info 0
		.amdhsa_system_vgpr_workitem_id 0
		.amdhsa_next_free_vgpr 128
		.amdhsa_next_free_sgpr 20
		.amdhsa_named_barrier_count 0
		.amdhsa_reserve_vcc 1
		.amdhsa_float_round_mode_32 0
		.amdhsa_float_round_mode_16_64 0
		.amdhsa_float_denorm_mode_32 3
		.amdhsa_float_denorm_mode_16_64 3
		.amdhsa_fp16_overflow 0
		.amdhsa_memory_ordered 1
		.amdhsa_forward_progress 1
		.amdhsa_inst_pref_size 75
		.amdhsa_round_robin_scheduling 0
		.amdhsa_exception_fp_ieee_invalid_op 0
		.amdhsa_exception_fp_denorm_src 0
		.amdhsa_exception_fp_ieee_div_zero 0
		.amdhsa_exception_fp_ieee_overflow 0
		.amdhsa_exception_fp_ieee_underflow 0
		.amdhsa_exception_fp_ieee_inexact 0
		.amdhsa_exception_int_div_zero 0
	.end_amdhsa_kernel
	.section	.text._ZL21gated_linear_attn_f32ILi128EEviiiifPKfS1_S1_S1_S1_Pf,"axG",@progbits,_ZL21gated_linear_attn_f32ILi128EEviiiifPKfS1_S1_S1_S1_Pf,comdat
.Lfunc_end1:
	.size	_ZL21gated_linear_attn_f32ILi128EEviiiifPKfS1_S1_S1_S1_Pf, .Lfunc_end1-_ZL21gated_linear_attn_f32ILi128EEviiiifPKfS1_S1_S1_S1_Pf
                                        ; -- End function
	.set _ZL21gated_linear_attn_f32ILi128EEviiiifPKfS1_S1_S1_S1_Pf.num_vgpr, 128
	.set _ZL21gated_linear_attn_f32ILi128EEviiiifPKfS1_S1_S1_S1_Pf.num_agpr, 0
	.set _ZL21gated_linear_attn_f32ILi128EEviiiifPKfS1_S1_S1_S1_Pf.numbered_sgpr, 20
	.set _ZL21gated_linear_attn_f32ILi128EEviiiifPKfS1_S1_S1_S1_Pf.num_named_barrier, 0
	.set _ZL21gated_linear_attn_f32ILi128EEviiiifPKfS1_S1_S1_S1_Pf.private_seg_size, 328
	.set _ZL21gated_linear_attn_f32ILi128EEviiiifPKfS1_S1_S1_S1_Pf.uses_vcc, 1
	.set _ZL21gated_linear_attn_f32ILi128EEviiiifPKfS1_S1_S1_S1_Pf.uses_flat_scratch, 1
	.set _ZL21gated_linear_attn_f32ILi128EEviiiifPKfS1_S1_S1_S1_Pf.has_dyn_sized_stack, 0
	.set _ZL21gated_linear_attn_f32ILi128EEviiiifPKfS1_S1_S1_S1_Pf.has_recursion, 0
	.set _ZL21gated_linear_attn_f32ILi128EEviiiifPKfS1_S1_S1_S1_Pf.has_indirect_call, 0
	.section	.AMDGPU.csdata,"",@progbits
; Kernel info:
; codeLenInByte = 9488
; TotalNumSgprs: 22
; NumVgprs: 128
; ScratchSize: 328
; MemoryBound: 0
; FloatMode: 240
; IeeeMode: 1
; LDSByteSize: 1536 bytes/workgroup (compile time only)
; SGPRBlocks: 0
; VGPRBlocks: 7
; NumSGPRsForWavesPerEU: 22
; NumVGPRsForWavesPerEU: 128
; NamedBarCnt: 0
; Occupancy: 8
; WaveLimiterHint : 1
; COMPUTE_PGM_RSRC2:SCRATCH_EN: 1
; COMPUTE_PGM_RSRC2:USER_SGPR: 2
; COMPUTE_PGM_RSRC2:TRAP_HANDLER: 0
; COMPUTE_PGM_RSRC2:TGID_X_EN: 1
; COMPUTE_PGM_RSRC2:TGID_Y_EN: 0
; COMPUTE_PGM_RSRC2:TGID_Z_EN: 0
; COMPUTE_PGM_RSRC2:TIDIG_COMP_CNT: 0
	.section	.AMDGPU.gpr_maximums,"",@progbits
	.set amdgpu.max_num_vgpr, 0
	.set amdgpu.max_num_agpr, 0
	.set amdgpu.max_num_sgpr, 0
	.section	.AMDGPU.csdata,"",@progbits
	.type	__hip_cuid_c15f324c8f7acec3,@object ; @__hip_cuid_c15f324c8f7acec3
	.section	.bss,"aw",@nobits
	.globl	__hip_cuid_c15f324c8f7acec3
__hip_cuid_c15f324c8f7acec3:
	.byte	0                               ; 0x0
	.size	__hip_cuid_c15f324c8f7acec3, 1

	.ident	"AMD clang version 22.0.0git (https://github.com/RadeonOpenCompute/llvm-project roc-7.2.4 26084 f58b06dce1f9c15707c5f808fd002e18c2accf7e)"
	.section	".note.GNU-stack","",@progbits
	.addrsig
	.addrsig_sym __hip_cuid_c15f324c8f7acec3
	.amdgpu_metadata
---
amdhsa.kernels:
  - .args:
      - .offset:         0
        .size:           4
        .value_kind:     by_value
      - .offset:         4
        .size:           4
        .value_kind:     by_value
      - .offset:         8
        .size:           4
        .value_kind:     by_value
      - .offset:         12
        .size:           4
        .value_kind:     by_value
      - .offset:         16
        .size:           4
        .value_kind:     by_value
      - .address_space:  global
        .offset:         24
        .size:           8
        .value_kind:     global_buffer
      - .address_space:  global
        .offset:         32
        .size:           8
        .value_kind:     global_buffer
      - .address_space:  global
        .offset:         40
        .size:           8
        .value_kind:     global_buffer
      - .address_space:  global
        .offset:         48
        .size:           8
        .value_kind:     global_buffer
      - .address_space:  global
        .offset:         56
        .size:           8
        .value_kind:     global_buffer
      - .address_space:  global
        .offset:         64
        .size:           8
        .value_kind:     global_buffer
    .group_segment_fixed_size: 768
    .kernarg_segment_align: 8
    .kernarg_segment_size: 72
    .language:       OpenCL C
    .language_version:
      - 2
      - 0
    .max_flat_workgroup_size: 1024
    .name:           _ZL21gated_linear_attn_f32ILi64EEviiiifPKfS1_S1_S1_S1_Pf
    .private_segment_fixed_size: 0
    .sgpr_count:     22
    .sgpr_spill_count: 0
    .symbol:         _ZL21gated_linear_attn_f32ILi64EEviiiifPKfS1_S1_S1_S1_Pf.kd
    .uniform_work_group_size: 1
    .uses_dynamic_stack: false
    .vgpr_count:     122
    .vgpr_spill_count: 0
    .wavefront_size: 32
  - .args:
      - .offset:         0
        .size:           4
        .value_kind:     by_value
      - .offset:         4
        .size:           4
        .value_kind:     by_value
      - .offset:         8
        .size:           4
        .value_kind:     by_value
      - .offset:         12
        .size:           4
        .value_kind:     by_value
      - .offset:         16
        .size:           4
        .value_kind:     by_value
      - .address_space:  global
        .offset:         24
        .size:           8
        .value_kind:     global_buffer
      - .address_space:  global
        .offset:         32
        .size:           8
        .value_kind:     global_buffer
      - .address_space:  global
        .offset:         40
        .size:           8
        .value_kind:     global_buffer
      - .address_space:  global
        .offset:         48
        .size:           8
        .value_kind:     global_buffer
      - .address_space:  global
        .offset:         56
        .size:           8
        .value_kind:     global_buffer
      - .address_space:  global
        .offset:         64
        .size:           8
        .value_kind:     global_buffer
    .group_segment_fixed_size: 1536
    .kernarg_segment_align: 8
    .kernarg_segment_size: 72
    .language:       OpenCL C
    .language_version:
      - 2
      - 0
    .max_flat_workgroup_size: 1024
    .name:           _ZL21gated_linear_attn_f32ILi128EEviiiifPKfS1_S1_S1_S1_Pf
    .private_segment_fixed_size: 328
    .sgpr_count:     22
    .sgpr_spill_count: 0
    .symbol:         _ZL21gated_linear_attn_f32ILi128EEviiiifPKfS1_S1_S1_S1_Pf.kd
    .uniform_work_group_size: 1
    .uses_dynamic_stack: false
    .vgpr_count:     128
    .vgpr_spill_count: 165
    .wavefront_size: 32
amdhsa.target:   amdgcn-amd-amdhsa--gfx1250
amdhsa.version:
  - 1
  - 2
...

	.end_amdgpu_metadata
